;; amdgpu-corpus repo=ROCm/rocFFT kind=compiled arch=gfx906 opt=O3
	.text
	.amdgcn_target "amdgcn-amd-amdhsa--gfx906"
	.amdhsa_code_object_version 6
	.protected	bluestein_single_fwd_len1170_dim1_half_op_CI_CI ; -- Begin function bluestein_single_fwd_len1170_dim1_half_op_CI_CI
	.globl	bluestein_single_fwd_len1170_dim1_half_op_CI_CI
	.p2align	8
	.type	bluestein_single_fwd_len1170_dim1_half_op_CI_CI,@function
bluestein_single_fwd_len1170_dim1_half_op_CI_CI: ; @bluestein_single_fwd_len1170_dim1_half_op_CI_CI
; %bb.0:
	s_load_dwordx4 s[16:19], s[4:5], 0x28
	v_mul_u32_u24_e32 v1, 0x231, v0
	v_add_u32_sdwa v20, s6, v1 dst_sel:DWORD dst_unused:UNUSED_PAD src0_sel:DWORD src1_sel:WORD_1
	v_mov_b32_e32 v21, 0
	s_waitcnt lgkmcnt(0)
	v_cmp_gt_u64_e32 vcc, s[16:17], v[20:21]
	s_and_saveexec_b64 s[0:1], vcc
	s_cbranch_execz .LBB0_26
; %bb.1:
	s_load_dwordx4 s[0:3], s[4:5], 0x18
	s_load_dwordx4 s[12:15], s[4:5], 0x0
                                        ; implicit-def: $vgpr35
                                        ; implicit-def: $vgpr46
                                        ; implicit-def: $vgpr34
                                        ; implicit-def: $vgpr62
                                        ; implicit-def: $vgpr23
	s_waitcnt lgkmcnt(0)
	s_load_dwordx4 s[8:11], s[0:1], 0x0
	s_movk_i32 s0, 0x75
	v_mul_lo_u16_sdwa v1, v1, s0 dst_sel:DWORD dst_unused:UNUSED_PAD src0_sel:WORD_1 src1_sel:DWORD
	v_sub_u16_e32 v59, v0, v1
	v_lshlrev_b32_e32 v51, 2, v59
	s_waitcnt lgkmcnt(0)
	v_mad_u64_u32 v[0:1], s[6:7], s10, v20, 0
	v_mad_u64_u32 v[2:3], s[6:7], s8, v59, 0
	s_mul_i32 s1, s9, 0x924
	global_load_dword v60, v51, s[12:13]
	v_mad_u64_u32 v[4:5], s[6:7], s11, v20, v[1:2]
	v_lshlrev_b32_e32 v45, 3, v59
	v_mad_u64_u32 v[5:6], s[6:7], s9, v59, v[3:4]
	v_mov_b32_e32 v1, v4
	v_lshlrev_b64 v[0:1], 2, v[0:1]
	v_mov_b32_e32 v6, s19
	v_mov_b32_e32 v3, v5
	v_add_co_u32_e32 v4, vcc, s18, v0
	v_addc_co_u32_e32 v5, vcc, v6, v1, vcc
	v_lshlrev_b64 v[0:1], 2, v[2:3]
	v_mov_b32_e32 v2, s13
	v_add_co_u32_e32 v0, vcc, v4, v0
	v_addc_co_u32_e32 v1, vcc, v5, v1, vcc
	v_add_co_u32_e32 v4, vcc, s12, v51
	s_mul_hi_u32 s6, s8, 0x924
	v_addc_co_u32_e32 v5, vcc, 0, v2, vcc
	s_add_i32 s1, s6, s1
	s_mul_i32 s6, s8, 0x924
	v_mov_b32_e32 v3, s1
	v_add_co_u32_e32 v2, vcc, s6, v0
	v_addc_co_u32_e32 v3, vcc, v1, v3, vcc
	global_load_dword v6, v[0:1], off
	global_load_dword v7, v[2:3], off
	global_load_dword v58, v51, s[12:13] offset:2340
	s_mul_i32 s7, s9, 0xfffff8b0
	s_mul_hi_u32 s9, s8, 0xfffff8b0
	s_sub_i32 s9, s9, s8
	s_add_i32 s7, s9, s7
	s_mulk_i32 s8, 0xf8b0
	v_mov_b32_e32 v1, s7
	v_add_co_u32_e32 v0, vcc, s8, v2
	v_addc_co_u32_e32 v1, vcc, v3, v1, vcc
	global_load_dword v2, v[0:1], off
	global_load_dword v57, v51, s[12:13] offset:468
	v_mov_b32_e32 v3, s1
	v_add_co_u32_e32 v0, vcc, s6, v0
	v_addc_co_u32_e32 v1, vcc, v1, v3, vcc
	global_load_dword v3, v[0:1], off
	global_load_dword v56, v51, s[12:13] offset:2808
	;; [unrolled: 5-line block ×7, first 2 shown]
	v_mov_b32_e32 v13, s1
	v_add_co_u32_e32 v0, vcc, s6, v0
	v_addc_co_u32_e32 v1, vcc, v1, v13, vcc
	s_movk_i32 s1, 0x1000
	global_load_dword v13, v[0:1], off
	v_add_co_u32_e32 v0, vcc, s1, v4
	v_addc_co_u32_e32 v1, vcc, 0, v5, vcc
	global_load_dword v49, v[0:1], off offset:116
	s_load_dwordx2 s[6:7], s[4:5], 0x38
	s_load_dwordx4 s[8:11], s[2:3], 0x0
	v_add_co_u32_e32 v31, vcc, s0, v59
	s_movk_i32 s0, 0xea
	v_add_co_u32_e32 v25, vcc, s0, v59
	s_movk_i32 s0, 0x15f
	v_add_co_u32_e32 v29, vcc, s0, v59
	v_addc_co_u32_e64 v30, s[0:1], 0, 0, vcc
	s_movk_i32 s0, 0x5a
	v_lshlrev_b32_e32 v63, 3, v31
	v_lshlrev_b32_e32 v65, 3, v25
	;; [unrolled: 1-line block ×3, first 2 shown]
	v_cmp_gt_u16_e64 s[0:1], s0, v59
	s_waitcnt vmcnt(18)
	v_lshrrev_b32_e32 v0, 16, v6
	v_mul_f16_sdwa v1, v60, v0 dst_sel:DWORD dst_unused:UNUSED_PAD src0_sel:WORD_1 src1_sel:DWORD
	v_mul_f16_sdwa v4, v60, v6 dst_sel:DWORD dst_unused:UNUSED_PAD src0_sel:WORD_1 src1_sel:DWORD
	v_fma_f16 v1, v60, v6, v1
	v_fma_f16 v0, v60, v0, -v4
	v_pack_b32_f16 v0, v1, v0
	s_waitcnt vmcnt(17)
	v_lshrrev_b32_e32 v1, 16, v7
	s_waitcnt vmcnt(16)
	v_mul_f16_sdwa v4, v58, v1 dst_sel:DWORD dst_unused:UNUSED_PAD src0_sel:WORD_1 src1_sel:DWORD
	v_mul_f16_sdwa v5, v58, v7 dst_sel:DWORD dst_unused:UNUSED_PAD src0_sel:WORD_1 src1_sel:DWORD
	v_fma_f16 v4, v58, v7, v4
	v_fma_f16 v1, v58, v1, -v5
	v_pack_b32_f16 v1, v4, v1
	ds_write_b32 v51, v1 offset:2340
	s_waitcnt vmcnt(15)
	v_lshrrev_b32_e32 v1, 16, v2
	s_waitcnt vmcnt(14)
	v_mul_f16_sdwa v4, v57, v1 dst_sel:DWORD dst_unused:UNUSED_PAD src0_sel:WORD_1 src1_sel:DWORD
	v_fma_f16 v4, v57, v2, v4
	v_mul_f16_sdwa v2, v57, v2 dst_sel:DWORD dst_unused:UNUSED_PAD src0_sel:WORD_1 src1_sel:DWORD
	v_fma_f16 v1, v57, v1, -v2
	v_pack_b32_f16 v1, v4, v1
	ds_write2_b32 v51, v0, v1 offset1:117
	s_waitcnt vmcnt(13)
	v_lshrrev_b32_e32 v0, 16, v3
	s_waitcnt vmcnt(12)
	v_mul_f16_sdwa v1, v56, v0 dst_sel:DWORD dst_unused:UNUSED_PAD src0_sel:WORD_1 src1_sel:DWORD
	v_mul_f16_sdwa v2, v56, v3 dst_sel:DWORD dst_unused:UNUSED_PAD src0_sel:WORD_1 src1_sel:DWORD
	v_fma_f16 v1, v56, v3, v1
	v_fma_f16 v0, v56, v0, -v2
	v_pack_b32_f16 v1, v1, v0
	s_waitcnt vmcnt(11)
	v_lshrrev_b32_e32 v0, 16, v8
	s_waitcnt vmcnt(10)
	v_mul_f16_sdwa v2, v55, v0 dst_sel:DWORD dst_unused:UNUSED_PAD src0_sel:WORD_1 src1_sel:DWORD
	v_mul_f16_sdwa v3, v55, v8 dst_sel:DWORD dst_unused:UNUSED_PAD src0_sel:WORD_1 src1_sel:DWORD
	v_fma_f16 v2, v55, v8, v2
	v_fma_f16 v0, v55, v0, -v3
	v_pack_b32_f16 v2, v2, v0
	;; [unrolled: 8-line block ×3, first 2 shown]
	v_add_u32_e32 v0, 0xa00, v51
	ds_write2_b32 v0, v1, v3 offset0:62 offset1:179
	s_waitcnt vmcnt(7)
	v_lshrrev_b32_e32 v1, 16, v10
	s_waitcnt vmcnt(6)
	v_mul_f16_sdwa v3, v53, v1 dst_sel:DWORD dst_unused:UNUSED_PAD src0_sel:WORD_1 src1_sel:DWORD
	v_mul_f16_sdwa v4, v53, v10 dst_sel:DWORD dst_unused:UNUSED_PAD src0_sel:WORD_1 src1_sel:DWORD
	v_fma_f16 v3, v53, v10, v3
	v_fma_f16 v1, v53, v1, -v4
	v_pack_b32_f16 v3, v3, v1
	v_add_u32_e32 v1, 0x200, v51
	ds_write2_b32 v1, v2, v3 offset0:106 offset1:223
	s_waitcnt vmcnt(5)
	v_lshrrev_b32_e32 v2, 16, v11
	s_waitcnt vmcnt(4)
	v_mul_f16_sdwa v3, v52, v2 dst_sel:DWORD dst_unused:UNUSED_PAD src0_sel:WORD_1 src1_sel:DWORD
	v_mul_f16_sdwa v4, v52, v11 dst_sel:DWORD dst_unused:UNUSED_PAD src0_sel:WORD_1 src1_sel:DWORD
	v_fma_f16 v3, v52, v11, v3
	v_fma_f16 v2, v52, v2, -v4
	v_pack_b32_f16 v2, v3, v2
	s_waitcnt vmcnt(3)
	v_lshrrev_b32_e32 v3, 16, v12
	s_waitcnt vmcnt(2)
	v_mul_f16_sdwa v4, v50, v3 dst_sel:DWORD dst_unused:UNUSED_PAD src0_sel:WORD_1 src1_sel:DWORD
	v_mul_f16_sdwa v5, v50, v12 dst_sel:DWORD dst_unused:UNUSED_PAD src0_sel:WORD_1 src1_sel:DWORD
	v_fma_f16 v4, v50, v12, v4
	v_fma_f16 v3, v50, v3, -v5
	v_pack_b32_f16 v3, v4, v3
	ds_write_b32 v51, v3 offset:1872
	s_waitcnt vmcnt(1)
	v_lshrrev_b32_e32 v3, 16, v13
	s_waitcnt vmcnt(0)
	v_mul_f16_sdwa v4, v49, v3 dst_sel:DWORD dst_unused:UNUSED_PAD src0_sel:WORD_1 src1_sel:DWORD
	v_mul_f16_sdwa v5, v49, v13 dst_sel:DWORD dst_unused:UNUSED_PAD src0_sel:WORD_1 src1_sel:DWORD
	v_fma_f16 v4, v49, v13, v4
	v_fma_f16 v3, v49, v3, -v5
	v_pack_b32_f16 v3, v4, v3
	v_add_u32_e32 v10, 0xe00, v51
	v_add_u32_e32 v4, 0x600, v51
	ds_write2_b32 v10, v2, v3 offset0:40 offset1:157
	s_waitcnt lgkmcnt(0)
	s_barrier
	ds_read2_b32 v[2:3], v51 offset1:117
	ds_read2_b32 v[4:5], v4 offset0:84 offset1:201
	ds_read2_b32 v[6:7], v0 offset0:62 offset1:179
	ds_read2_b32 v[8:9], v1 offset0:106 offset1:223
	ds_read2_b32 v[10:11], v10 offset0:40 offset1:157
	s_waitcnt lgkmcnt(0)
	s_barrier
	v_pk_add_f16 v13, v2, v5 neg_lo:[0,1] neg_hi:[0,1]
	v_pk_add_f16 v15, v3, v6 neg_lo:[0,1] neg_hi:[0,1]
	;; [unrolled: 1-line block ×5, first 2 shown]
	v_pk_fma_f16 v12, v2, 2.0, v13 op_sel_hi:[1,0,1] neg_lo:[0,0,1] neg_hi:[0,0,1]
	v_pk_fma_f16 v14, v3, 2.0, v15 op_sel_hi:[1,0,1] neg_lo:[0,0,1] neg_hi:[0,0,1]
	;; [unrolled: 1-line block ×5, first 2 shown]
	v_lshrrev_b32_e32 v26, 16, v12
	v_lshrrev_b32_e32 v32, 16, v14
	;; [unrolled: 1-line block ×5, first 2 shown]
	ds_write_b64 v45, v[12:13]
	ds_write_b64 v63, v[14:15]
	;; [unrolled: 1-line block ×4, first 2 shown]
	ds_write_b64 v45, v[21:22] offset:3744
	s_waitcnt lgkmcnt(0)
	s_barrier
	s_and_saveexec_b64 s[2:3], s[0:1]
	s_cbranch_execz .LBB0_3
; %bb.2:
	ds_read2_b32 v[12:13], v51 offset1:90
	ds_read2_b32 v[14:15], v1 offset0:52 offset1:142
	v_add_u32_e32 v1, 0x400, v51
	ds_read2_b32 v[16:17], v1 offset0:104 offset1:194
	v_add_u32_e32 v1, 0x800, v51
	ds_read2_b32 v[18:19], v1 offset0:28 offset1:118
	ds_read2_b32 v[21:22], v0 offset0:80 offset1:170
	v_add_u32_e32 v0, 0xc00, v51
	ds_read2_b32 v[23:24], v0 offset0:132 offset1:222
	ds_read_b32 v34, v51 offset:4320
	s_waitcnt lgkmcnt(6)
	v_lshrrev_b32_e32 v26, 16, v12
	s_waitcnt lgkmcnt(5)
	v_lshrrev_b32_e32 v32, 16, v14
	;; [unrolled: 2-line block ×6, first 2 shown]
	v_lshrrev_b32_e32 v46, 16, v24
	s_waitcnt lgkmcnt(0)
	v_lshrrev_b32_e32 v62, 16, v34
.LBB0_3:
	s_or_b64 exec, exec, s[2:3]
	v_and_b32_e32 v61, 1, v59
	v_mul_u32_u24_e32 v0, 12, v61
	v_lshlrev_b32_e32 v27, 2, v0
	global_load_dwordx4 v[0:3], v27, s[14:15]
	global_load_dwordx4 v[4:7], v27, s[14:15] offset:16
	global_load_dwordx4 v[8:11], v27, s[14:15] offset:32
	v_lshrrev_b32_e32 v47, 16, v15
	v_lshrrev_b32_e32 v48, 16, v17
	;; [unrolled: 1-line block ×5, first 2 shown]
	s_movk_i32 s4, 0x3b15
	s_movk_i32 s5, 0x388b
	s_mov_b32 s16, 0xb5ac
	s_movk_i32 s17, 0x2fb7
	s_mov_b32 s18, 0xbbc4
	s_mov_b32 s19, 0xb9fd
	;; [unrolled: 1-line block ×7, first 2 shown]
	s_movk_i32 s31, 0x394e
	s_movk_i32 s29, 0x3b7b
	;; [unrolled: 1-line block ×3, first 2 shown]
	s_mov_b32 s25, 0xb94e
	s_movk_i32 s24, 0x3bf1
	s_movk_i32 s23, 0x33a8
	;; [unrolled: 1-line block ×3, first 2 shown]
	s_waitcnt vmcnt(0)
	s_barrier
	v_mul_f16_sdwa v28, v47, v2 dst_sel:DWORD dst_unused:UNUSED_PAD src0_sel:DWORD src1_sel:WORD_1
	v_mul_f16_sdwa v70, v15, v2 dst_sel:DWORD dst_unused:UNUSED_PAD src0_sel:DWORD src1_sel:WORD_1
	;; [unrolled: 1-line block ×14, first 2 shown]
	v_fma_f16 v28, v15, v2, -v28
	v_fma_f16 v39, v17, v4, -v39
	;; [unrolled: 1-line block ×3, first 2 shown]
	v_fma_f16 v15, v47, v2, v70
	v_fma_f16 v17, v48, v4, v72
	;; [unrolled: 1-line block ×4, first 2 shown]
	v_fma_f16 v66, v13, v0, -v81
	v_fma_f16 v13, v46, v10, v79
	v_fma_f16 v48, v34, v11, -v82
	v_fma_f16 v46, v62, v11, v83
	v_mul_f16_sdwa v40, v37, v5 dst_sel:DWORD dst_unused:UNUSED_PAD src0_sel:DWORD src1_sel:WORD_1
	v_mul_f16_sdwa v73, v18, v5 dst_sel:DWORD dst_unused:UNUSED_PAD src0_sel:DWORD src1_sel:WORD_1
	v_fma_f16 v27, v14, v1, -v27
	v_fma_f16 v24, v24, v10, -v77
	v_fma_f16 v14, v32, v1, v69
	v_sub_f16_e32 v100, v47, v46
	v_sub_f16_e32 v87, v66, v48
	v_mul_f16_sdwa v42, v36, v7 dst_sel:DWORD dst_unused:UNUSED_PAD src0_sel:DWORD src1_sel:WORD_1
	v_mul_f16_sdwa v43, v67, v8 dst_sel:DWORD dst_unused:UNUSED_PAD src0_sel:DWORD src1_sel:WORD_1
	;; [unrolled: 1-line block ×4, first 2 shown]
	v_fma_f16 v40, v18, v5, -v40
	v_fma_f16 v18, v37, v5, v73
	v_add_f16_e32 v81, v66, v48
	v_sub_f16_e32 v99, v14, v13
	v_add_f16_e32 v109, v47, v46
	v_sub_f16_e32 v88, v27, v24
	v_mul_f16_e32 v68, 0xb770, v100
	v_mul_f16_e32 v70, 0xb770, v87
	;; [unrolled: 1-line block ×3, first 2 shown]
	v_mul_f16_sdwa v38, v33, v3 dst_sel:DWORD dst_unused:UNUSED_PAD src0_sel:DWORD src1_sel:WORD_1
	v_mul_f16_sdwa v71, v16, v3 dst_sel:DWORD dst_unused:UNUSED_PAD src0_sel:DWORD src1_sel:WORD_1
	;; [unrolled: 1-line block ×4, first 2 shown]
	v_fma_f16 v42, v21, v7, -v42
	v_fma_f16 v43, v22, v8, -v43
	v_fma_f16 v21, v36, v7, v75
	v_fma_f16 v22, v67, v8, v76
	v_add_f16_e32 v82, v27, v24
	v_add_f16_e32 v108, v14, v13
	v_mul_f16_e32 v67, 0xba95, v99
	v_mul_f16_e32 v69, 0xba95, v88
	;; [unrolled: 1-line block ×4, first 2 shown]
	v_fma_f16 v32, v81, s4, v68
	v_fma_f16 v34, v109, s4, -v70
	v_fma_f16 v36, v81, s5, v73
	v_fma_f16 v38, v16, v3, -v38
	v_fma_f16 v44, v23, v9, -v44
	v_fma_f16 v16, v33, v3, v71
	v_fma_f16 v23, v35, v9, v78
	;; [unrolled: 1-line block ×3, first 2 shown]
	v_fma_f16 v35, v108, s5, -v69
	v_fma_f16 v37, v82, s16, v74
	v_fma_f16 v62, v109, s5, -v75
	v_add_f16_e32 v32, v12, v32
	v_add_f16_e32 v34, v26, v34
	;; [unrolled: 1-line block ×3, first 2 shown]
	v_mul_f16_e32 v76, 0xbb7b, v88
	v_add_f16_e32 v32, v33, v32
	v_add_f16_e32 v33, v35, v34
	;; [unrolled: 1-line block ×4, first 2 shown]
	v_fma_f16 v36, v108, s16, -v76
	v_mul_f16_e32 v78, 0xbbf1, v100
	v_add_f16_e32 v35, v36, v35
	v_fma_f16 v36, v81, s17, v78
	v_mul_f16_e32 v80, 0xb3a8, v99
	v_add_f16_e32 v36, v12, v36
	v_fma_f16 v37, v82, s18, v80
	v_mul_f16_e32 v85, 0xbbf1, v87
	v_add_f16_e32 v36, v37, v36
	v_fma_f16 v37, v109, s17, -v85
	v_mul_f16_e32 v86, 0xb3a8, v88
	v_add_f16_e32 v37, v26, v37
	v_fma_f16 v62, v108, s18, -v86
	v_mul_f16_e32 v91, 0xbb7b, v100
	v_add_f16_e32 v37, v62, v37
	v_fma_f16 v62, v81, s16, v91
	v_mul_f16_e32 v92, 0x394e, v99
	v_add_f16_e32 v62, v12, v62
	v_fma_f16 v71, v82, s19, v92
	v_mul_f16_e32 v96, 0xbb7b, v87
	v_add_f16_e32 v62, v71, v62
	v_fma_f16 v71, v109, s16, -v96
	v_mul_f16_e32 v97, 0x394e, v88
	v_sub_f16_e32 v120, v15, v23
	v_add_f16_e32 v71, v26, v71
	v_fma_f16 v72, v108, s19, -v97
	v_add_f16_e32 v103, v28, v44
	v_mul_f16_e32 v77, 0xbbf1, v120
	v_sub_f16_e32 v110, v28, v44
	v_add_f16_e32 v71, v72, v71
	v_fma_f16 v72, v103, s17, v77
	v_add_f16_e32 v127, v15, v23
	v_mul_f16_e32 v79, 0xbbf1, v110
	v_add_f16_e32 v32, v72, v32
	v_fma_f16 v72, v127, s17, -v79
	v_mul_f16_e32 v83, 0xb3a8, v120
	v_add_f16_e32 v33, v72, v33
	v_fma_f16 v72, v103, s18, v83
	v_mul_f16_e32 v89, 0xb3a8, v110
	v_add_f16_e32 v34, v72, v34
	v_fma_f16 v72, v127, s18, -v89
	v_mul_f16_e32 v93, 0x3b7b, v120
	v_add_f16_e32 v35, v72, v35
	v_fma_f16 v72, v103, s16, v93
	v_mul_f16_e32 v98, 0x3b7b, v110
	v_add_f16_e32 v36, v72, v36
	v_fma_f16 v72, v127, s16, -v98
	v_mul_f16_e32 v104, 0x3770, v120
	v_add_f16_e32 v37, v72, v37
	v_fma_f16 v72, v103, s4, v104
	v_mul_f16_e32 v111, 0x3770, v110
	v_sub_f16_e32 v128, v16, v22
	v_add_f16_e32 v62, v72, v62
	v_fma_f16 v72, v127, s4, -v111
	v_add_f16_e32 v115, v38, v43
	v_mul_f16_e32 v84, 0xbb7b, v128
	v_sub_f16_e32 v121, v38, v43
	v_add_f16_e32 v71, v72, v71
	v_fma_f16 v72, v115, s16, v84
	v_add_f16_e32 v134, v16, v22
	v_mul_f16_e32 v90, 0xbb7b, v121
	v_add_f16_e32 v32, v72, v32
	v_fma_f16 v72, v134, s16, -v90
	v_mul_f16_e32 v94, 0x394e, v128
	v_add_f16_e32 v33, v72, v33
	v_fma_f16 v72, v115, s19, v94
	v_mul_f16_e32 v101, 0x394e, v121
	v_add_f16_e32 v34, v72, v34
	v_fma_f16 v72, v134, s19, -v101
	v_mul_f16_e32 v105, 0x3770, v128
	v_add_f16_e32 v35, v72, v35
	v_fma_f16 v72, v115, s4, v105
	v_mul_f16_e32 v112, 0x3770, v121
	v_add_f16_e32 v36, v72, v36
	v_fma_f16 v72, v134, s4, -v112
	v_mul_f16_e32 v116, 0xbbf1, v128
	v_add_f16_e32 v37, v72, v37
	v_fma_f16 v72, v115, s17, v116
	;; [unrolled: 28-line block ×3, first 2 shown]
	v_mul_f16_e32 v130, 0x33a8, v129
	v_sub_f16_e32 v139, v18, v19
	v_add_f16_e32 v62, v36, v62
	v_fma_f16 v36, v138, s18, -v130
	v_add_f16_e32 v132, v40, v41
	v_mul_f16_e32 v107, 0xb3a8, v139
	v_sub_f16_e32 v137, v40, v41
	v_add_f16_e32 v141, v36, v71
	v_fma_f16 v36, v132, s18, v107
	v_add_f16_e32 v140, v18, v19
	v_mul_f16_e32 v114, 0xb3a8, v137
	v_add_f16_e32 v71, v36, v32
	v_fma_f16 v32, v140, s18, -v114
	v_mul_f16_e32 v118, 0x3770, v139
	v_add_f16_e32 v72, v32, v33
	v_fma_f16 v32, v132, s4, v118
	v_mul_f16_e32 v123, 0x3770, v137
	v_add_f16_e32 v34, v32, v34
	v_fma_f16 v32, v140, s4, -v123
	v_mul_f16_e32 v126, 0xb94e, v139
	v_add_f16_e32 v36, v32, v35
	v_fma_f16 v32, v132, s19, v126
	v_add_f16_e32 v35, v32, v131
	v_mul_f16_e32 v131, 0xb94e, v137
	v_fma_f16 v32, v140, s19, -v131
	v_mul_f16_e32 v133, 0x3a95, v139
	v_mul_f16_e32 v136, 0x3a95, v137
	v_add_f16_e32 v37, v32, v37
	v_fma_f16 v32, v132, s5, v133
	v_fma_f16 v33, v140, s5, -v136
	v_add_f16_e32 v32, v32, v62
	v_add_f16_e32 v33, v33, v141
	v_lshrrev_b32_e32 v62, 1, v59
	s_and_saveexec_b64 s[2:3], s[0:1]
	s_cbranch_execz .LBB0_5
; %bb.4:
	v_mul_f16_e32 v189, 0xb9fd, v109
	v_fma_f16 v190, v87, s31, v189
	v_mul_f16_e32 v191, 0x2fb7, v108
	v_add_f16_e32 v190, v26, v190
	v_fma_f16 v192, v88, s28, v191
	v_add_f16_e32 v190, v192, v190
	v_mul_f16_e32 v192, 0x388b, v127
	v_fma_f16 v193, v110, s27, v192
	v_add_f16_e32 v190, v193, v190
	v_mul_f16_e32 v193, 0xbbc4, v134
	;; [unrolled: 3-line block ×5, first 2 shown]
	v_fma_f16 v197, v81, s19, v196
	v_mul_f16_e32 v198, 0x3bf1, v99
	v_add_f16_e32 v197, v12, v197
	v_fma_f16 v199, v82, s17, v198
	v_add_f16_e32 v197, v199, v197
	v_mul_f16_e32 v199, 0xba95, v120
	v_fma_f16 v200, v103, s5, v199
	v_add_f16_e32 v197, v200, v197
	v_mul_f16_e32 v200, 0x33a8, v128
	;; [unrolled: 3-line block ×4, first 2 shown]
	v_mul_f16_e32 v142, 0x3b15, v109
	v_mul_f16_e32 v144, 0x388b, v109
	;; [unrolled: 1-line block ×4, first 2 shown]
	v_fma_f16 v203, v132, s16, v202
	v_mul_f16_e32 v109, 0xbbc4, v109
	v_mul_f16_e32 v150, 0x388b, v108
	v_mul_f16_e32 v152, 0xb5ac, v108
	v_mul_f16_e32 v154, 0xbbc4, v108
	v_mul_f16_e32 v156, 0xb9fd, v108
	v_add_f16_e32 v197, v203, v197
	v_fma_f16 v203, v87, s23, v109
	v_mul_f16_e32 v108, 0x3b15, v108
	v_mul_f16_e32 v158, 0x2fb7, v127
	v_mul_f16_e32 v160, 0xbbc4, v127
	v_mul_f16_e32 v162, 0xb5ac, v127
	v_mul_f16_e32 v164, 0x3b15, v127
	v_add_f16_e32 v203, v26, v203
	;; [unrolled: 7-line block ×5, first 2 shown]
	v_fma_f16 v204, v129, s29, v138
	v_mul_f16_e32 v140, 0x2fb7, v140
	v_add_f16_e32 v203, v204, v203
	v_fma_f16 v204, v137, s28, v140
	v_mul_f16_e32 v100, 0xb3a8, v100
	v_mul_f16_e32 v141, 0x3b15, v81
	;; [unrolled: 1-line block ×5, first 2 shown]
	v_add_f16_e32 v203, v204, v203
	v_fma_f16 v204, v81, s18, v100
	v_mul_f16_e32 v99, 0x3770, v99
	v_fma_f16 v100, v81, s18, -v100
	v_fma_f16 v81, v81, s19, -v196
	v_mul_f16_e32 v149, 0x388b, v82
	v_mul_f16_e32 v151, 0xb5ac, v82
	;; [unrolled: 1-line block ×4, first 2 shown]
	v_fma_f16 v205, v82, s4, v99
	v_fma_f16 v109, v87, s26, v109
	v_fma_f16 v99, v82, s4, -v99
	v_fma_f16 v87, v87, s25, v189
	v_add_f16_e32 v81, v12, v81
	v_fma_f16 v82, v82, s17, -v198
	v_fma_f16 v108, v88, s22, v108
	v_add_f16_e32 v87, v26, v87
	v_fma_f16 v88, v88, s24, v191
	v_add_f16_e32 v81, v82, v81
	v_fma_f16 v82, v103, s5, -v199
	v_add_f16_e32 v87, v88, v87
	v_fma_f16 v88, v110, s21, v192
	v_add_f16_e32 v81, v82, v81
	v_fma_f16 v82, v115, s18, -v200
	;; [unrolled: 4-line block ×4, first 2 shown]
	v_add_f16_e32 v87, v88, v87
	v_fma_f16 v88, v137, s20, v195
	v_add_f16_e32 v81, v82, v81
	v_add_f16_e32 v82, v96, v148
	;; [unrolled: 1-line block ×14, first 2 shown]
	v_sub_f16_e32 v88, v147, v91
	v_sub_f16_e32 v78, v145, v78
	;; [unrolled: 1-line block ×4, first 2 shown]
	v_add_f16_e32 v204, v12, v204
	v_add_f16_e32 v100, v12, v100
	v_add_f16_e32 v88, v12, v88
	v_add_f16_e32 v78, v12, v78
	v_add_f16_e32 v73, v12, v73
	v_add_f16_e32 v68, v12, v68
	v_add_f16_e32 v12, v12, v66
	v_add_f16_e32 v12, v12, v27
	v_add_f16_e32 v12, v12, v28
	v_add_f16_e32 v12, v12, v38
	v_add_f16_e32 v12, v12, v39
	v_add_f16_e32 v12, v12, v40
	v_add_f16_e32 v12, v12, v41
	v_add_f16_e32 v12, v12, v42
	v_add_f16_e32 v12, v12, v43
	v_add_f16_e32 v12, v12, v44
	v_add_f16_e32 v12, v12, v24
	v_add_f16_e32 v24, v26, v47
	v_add_f16_e32 v14, v24, v14
	v_add_f16_e32 v14, v14, v15
	v_add_f16_e32 v14, v14, v16
	v_add_f16_e32 v14, v14, v17
	v_add_f16_e32 v70, v70, v142
	v_add_f16_e32 v14, v14, v18
	v_mul_f16_e32 v157, 0x2fb7, v103
	v_add_f16_e32 v85, v85, v146
	v_add_f16_e32 v75, v75, v144
	;; [unrolled: 1-line block ×4, first 2 shown]
	v_sub_f16_e32 v67, v149, v67
	v_add_f16_e32 v14, v14, v19
	v_mul_f16_e32 v159, 0xbbc4, v103
	v_mul_f16_e32 v161, 0xb5ac, v103
	;; [unrolled: 1-line block ×3, first 2 shown]
	v_add_f16_e32 v85, v26, v85
	v_add_f16_e32 v86, v86, v154
	v_sub_f16_e32 v80, v153, v80
	v_add_f16_e32 v75, v26, v75
	v_add_f16_e32 v76, v76, v152
	v_sub_f16_e32 v74, v151, v74
	v_add_f16_e32 v69, v69, v70
	v_add_f16_e32 v70, v79, v158
	;; [unrolled: 1-line block ×3, first 2 shown]
	v_sub_f16_e32 v68, v157, v77
	v_add_f16_e32 v14, v14, v21
	v_mul_f16_e32 v163, 0x3b15, v103
	v_mul_f16_e32 v167, 0xb9fd, v115
	;; [unrolled: 1-line block ×4, first 2 shown]
	v_sub_f16_e32 v91, v155, v92
	v_add_f16_e32 v85, v86, v85
	v_add_f16_e32 v86, v98, v162
	v_add_f16_e32 v78, v80, v78
	v_sub_f16_e32 v80, v161, v93
	v_add_f16_e32 v75, v76, v75
	v_add_f16_e32 v76, v89, v160
	v_add_f16_e32 v73, v74, v73
	;; [unrolled: 4-line block ×3, first 2 shown]
	v_sub_f16_e32 v68, v165, v84
	v_add_f16_e32 v14, v14, v22
	v_mul_f16_e32 v171, 0x2fb7, v115
	v_mul_f16_e32 v175, 0x2fb7, v124
	v_mul_f16_e32 v177, 0x388b, v124
	v_mul_f16_e32 v181, 0xbbc4, v132
	v_mul_f16_e32 v120, 0xb94e, v120
	v_add_f16_e32 v109, v26, v109
	v_add_f16_e32 v88, v91, v88
	v_sub_f16_e32 v91, v163, v104
	v_add_f16_e32 v85, v86, v85
	v_add_f16_e32 v86, v112, v170
	v_add_f16_e32 v78, v80, v78
	v_sub_f16_e32 v80, v169, v105
	v_add_f16_e32 v75, v76, v75
	;; [unrolled: 4-line block ×4, first 2 shown]
	v_mul_f16_e32 v179, 0xbbc4, v124
	v_mul_f16_e32 v183, 0x3b15, v132
	;; [unrolled: 1-line block ×3, first 2 shown]
	v_add_f16_e32 v204, v205, v204
	v_fma_f16 v205, v103, s19, v120
	v_mul_f16_e32 v128, 0x3a95, v128
	v_add_f16_e32 v108, v108, v109
	v_fma_f16 v109, v110, s25, v127
	v_add_f16_e32 v99, v99, v100
	v_fma_f16 v100, v103, s19, -v120
	v_add_f16_e32 v88, v91, v88
	v_sub_f16_e32 v91, v171, v116
	v_add_f16_e32 v85, v86, v85
	v_add_f16_e32 v86, v122, v178
	v_add_f16_e32 v78, v80, v78
	v_sub_f16_e32 v80, v177, v117
	v_add_f16_e32 v75, v76, v75
	v_add_f16_e32 v76, v113, v176
	;; [unrolled: 4-line block ×3, first 2 shown]
	v_add_f16_e32 v67, v68, v67
	v_sub_f16_e32 v68, v181, v107
	v_add_f16_e32 v13, v14, v13
	v_mul_u32_u24_e32 v14, 26, v62
	v_mul_f16_e32 v187, 0x388b, v132
	v_add_f16_e32 v204, v205, v204
	v_fma_f16 v205, v115, s5, v128
	v_mul_f16_e32 v135, 0xbb7b, v135
	v_add_f16_e32 v108, v109, v108
	v_fma_f16 v109, v121, s27, v134
	v_add_f16_e32 v99, v100, v99
	v_fma_f16 v100, v115, s5, -v128
	v_add_f16_e32 v88, v91, v88
	v_sub_f16_e32 v91, v179, v125
	v_add_f16_e32 v85, v86, v85
	v_add_f16_e32 v86, v131, v186
	v_add_f16_e32 v78, v80, v78
	v_sub_f16_e32 v80, v185, v126
	v_add_f16_e32 v75, v76, v75
	v_add_f16_e32 v76, v123, v184
	;; [unrolled: 4-line block ×3, first 2 shown]
	v_add_f16_e32 v12, v12, v48
	v_add_f16_e32 v13, v13, v46
	v_or_b32_e32 v14, v14, v61
	v_add_f16_e32 v204, v205, v204
	v_fma_f16 v205, v124, s16, v135
	v_mul_f16_e32 v139, 0x3bf1, v139
	v_add_f16_e32 v108, v109, v108
	v_fma_f16 v109, v129, s20, v138
	v_add_f16_e32 v99, v100, v99
	v_fma_f16 v100, v124, s16, -v135
	v_add_f16_e32 v88, v91, v88
	v_sub_f16_e32 v91, v187, v133
	v_add_f16_e32 v85, v86, v85
	v_add_f16_e32 v78, v80, v78
	;; [unrolled: 1-line block ×4, first 2 shown]
	v_lshlrev_b32_e32 v14, 2, v14
	v_pack_b32_f16 v12, v12, v13
	v_pack_b32_f16 v13, v67, v69
	v_add_f16_e32 v204, v205, v204
	v_fma_f16 v205, v132, s17, v139
	v_add_f16_e32 v108, v109, v108
	v_fma_f16 v109, v137, s24, v140
	v_add_f16_e32 v99, v100, v99
	v_fma_f16 v100, v132, s17, -v139
	v_add_f16_e32 v88, v91, v88
	ds_write2_b32 v14, v12, v13 offset1:2
	v_pack_b32_f16 v12, v73, v75
	v_pack_b32_f16 v13, v78, v85
	v_add_f16_e32 v204, v205, v204
	v_add_f16_e32 v108, v109, v108
	;; [unrolled: 1-line block ×3, first 2 shown]
	ds_write2_b32 v14, v12, v13 offset0:4 offset1:6
	v_pack_b32_f16 v12, v88, v82
	v_pack_b32_f16 v13, v81, v87
	ds_write2_b32 v14, v12, v13 offset0:8 offset1:10
	v_pack_b32_f16 v12, v99, v108
	v_pack_b32_f16 v13, v204, v203
	s_mov_b32 s4, 0x5040100
	ds_write2_b32 v14, v12, v13 offset0:12 offset1:14
	v_pack_b32_f16 v12, v197, v190
	v_perm_b32 v13, v33, v32, s4
	ds_write2_b32 v14, v12, v13 offset0:16 offset1:18
	v_perm_b32 v12, v37, v35, s4
	v_perm_b32 v13, v36, v34, s4
	ds_write2_b32 v14, v12, v13 offset0:20 offset1:22
	v_perm_b32 v12, v72, v71, s4
	ds_write_b32 v14, v12 offset:96
.LBB0_5:
	s_or_b64 exec, exec, s[2:3]
	v_add_u32_e32 v12, 0x300, v51
	v_add_u32_e32 v16, 0xc00, v51
	v_add_u32_e32 v18, 0x600, v51
	s_waitcnt lgkmcnt(0)
	s_barrier
	ds_read2_b32 v[14:15], v51 offset1:117
	ds_read2_b32 v[12:13], v12 offset0:42 offset1:198
	ds_read2_b32 v[16:17], v16 offset0:12 offset1:129
	;; [unrolled: 1-line block ×3, first 2 shown]
	ds_read_b32 v38, v51 offset:4056
	v_cmp_gt_u16_e64 s[2:3], 39, v59
	s_and_saveexec_b64 s[4:5], s[2:3]
	s_cbranch_execz .LBB0_7
; %bb.6:
	ds_read_b32 v32, v51 offset:1404
	ds_read_b32 v35, v51 offset:2964
	;; [unrolled: 1-line block ×3, first 2 shown]
	s_waitcnt lgkmcnt(2)
	v_lshrrev_b32_e32 v33, 16, v32
	s_waitcnt lgkmcnt(1)
	v_lshrrev_b32_e32 v37, 16, v35
	;; [unrolled: 2-line block ×3, first 2 shown]
.LBB0_7:
	s_or_b64 exec, exec, s[4:5]
	s_movk_i32 s4, 0x4f
	v_mul_lo_u16_sdwa v21, v59, s4 dst_sel:DWORD dst_unused:UNUSED_PAD src0_sel:BYTE_0 src1_sel:DWORD
	v_lshrrev_b16_e32 v39, 11, v21
	v_mul_lo_u16_e32 v21, 26, v39
	v_sub_u16_e32 v21, v59, v21
	v_and_b32_e32 v40, 0xff, v21
	v_mul_lo_u16_sdwa v21, v31, s4 dst_sel:DWORD dst_unused:UNUSED_PAD src0_sel:BYTE_0 src1_sel:DWORD
	v_lshrrev_b16_e32 v42, 11, v21
	v_mul_lo_u16_e32 v21, 26, v42
	v_sub_u16_e32 v21, v31, v21
	s_movk_i32 s4, 0x4ec5
	v_and_b32_e32 v43, 0xff, v21
	v_mul_u32_u24_sdwa v21, v25, s4 dst_sel:DWORD dst_unused:UNUSED_PAD src0_sel:WORD_0 src1_sel:DWORD
	v_lshrrev_b32_e32 v70, 19, v21
	v_mul_lo_u16_e32 v21, 26, v70
	v_sub_u16_e32 v73, v25, v21
	v_lshlrev_b16_e32 v21, 3, v73
	v_lshlrev_b32_e32 v41, 3, v40
	v_mov_b32_e32 v46, s15
	v_add_co_u32_e32 v27, vcc, s14, v21
	v_lshlrev_b32_e32 v44, 3, v43
	v_addc_co_u32_e32 v28, vcc, 0, v46, vcc
	global_load_dwordx2 v[25:26], v41, s[14:15] offset:96
	global_load_dwordx2 v[23:24], v44, s[14:15] offset:96
	global_load_dwordx2 v[21:22], v[27:28], off offset:96
	v_mul_u32_u24_sdwa v27, v29, s4 dst_sel:DWORD dst_unused:UNUSED_PAD src0_sel:WORD_0 src1_sel:DWORD
	v_lshrrev_b32_e32 v66, 19, v27
	v_mul_lo_u16_e32 v27, 26, v66
	v_sub_u16_e32 v67, v29, v27
	v_lshlrev_b16_e32 v27, 3, v67
	v_add_co_u32_e32 v27, vcc, s14, v27
	v_addc_co_u32_e32 v28, vcc, 0, v46, vcc
	global_load_dwordx2 v[27:28], v[27:28], off offset:96
	s_waitcnt lgkmcnt(3)
	v_lshrrev_b32_e32 v44, 16, v13
	s_waitcnt lgkmcnt(2)
	v_lshrrev_b32_e32 v46, 16, v16
	;; [unrolled: 2-line block ×3, first 2 shown]
	v_lshrrev_b32_e32 v68, 16, v17
	v_lshrrev_b32_e32 v41, 16, v14
	s_movk_i32 s4, 0x3aee
	s_mov_b32 s5, 0xbaee
	v_lshrrev_b32_e32 v47, 16, v15
	v_lshrrev_b32_e32 v74, 16, v19
	s_waitcnt lgkmcnt(0)
	v_lshrrev_b32_e32 v75, 16, v38
	v_lshrrev_b32_e32 v69, 16, v12
	v_mul_u32_u24_e32 v39, 0x4e, v39
	s_waitcnt vmcnt(0)
	s_barrier
	s_movk_i32 s16, 0x4e
	v_lshlrev_b32_e32 v77, 1, v59
	v_lshlrev_b32_e32 v76, 1, v31
	v_mul_f16_sdwa v78, v44, v25 dst_sel:DWORD dst_unused:UNUSED_PAD src0_sel:DWORD src1_sel:WORD_1
	v_mul_f16_sdwa v79, v13, v25 dst_sel:DWORD dst_unused:UNUSED_PAD src0_sel:DWORD src1_sel:WORD_1
	v_mul_f16_sdwa v80, v46, v26 dst_sel:DWORD dst_unused:UNUSED_PAD src0_sel:DWORD src1_sel:WORD_1
	v_mul_f16_sdwa v81, v16, v26 dst_sel:DWORD dst_unused:UNUSED_PAD src0_sel:DWORD src1_sel:WORD_1
	v_fma_f16 v78, v13, v25, -v78
	v_fma_f16 v44, v44, v25, v79
	v_fma_f16 v79, v16, v26, -v80
	v_mul_f16_sdwa v82, v48, v23 dst_sel:DWORD dst_unused:UNUSED_PAD src0_sel:DWORD src1_sel:WORD_1
	v_mul_f16_sdwa v84, v68, v24 dst_sel:DWORD dst_unused:UNUSED_PAD src0_sel:DWORD src1_sel:WORD_1
	v_fma_f16 v46, v46, v26, v81
	v_mul_f16_sdwa v83, v18, v23 dst_sel:DWORD dst_unused:UNUSED_PAD src0_sel:DWORD src1_sel:WORD_1
	v_mul_f16_sdwa v85, v17, v24 dst_sel:DWORD dst_unused:UNUSED_PAD src0_sel:DWORD src1_sel:WORD_1
	;; [unrolled: 1-line block ×6, first 2 shown]
	v_fma_f16 v13, v35, v27, -v90
	v_add_f16_e32 v35, v78, v79
	v_fma_f16 v80, v18, v23, -v82
	v_fma_f16 v81, v17, v24, -v84
	v_fma_f16 v17, v37, v27, v91
	v_fma_f16 v16, v34, v28, -v92
	v_fma_f16 v18, v36, v28, v93
	v_add_f16_e32 v34, v14, v78
	v_sub_f16_e32 v36, v44, v46
	v_add_f16_e32 v37, v41, v44
	v_add_f16_e32 v44, v44, v46
	v_fma_f16 v14, v35, -0.5, v14
	v_fma_f16 v48, v48, v23, v83
	v_fma_f16 v68, v68, v24, v85
	v_add_f16_e32 v35, v37, v46
	v_fma_f16 v37, v36, s4, v14
	v_fma_f16 v14, v36, s5, v14
	v_fma_f16 v36, v44, -0.5, v41
	v_sub_f16_e32 v41, v78, v79
	v_add_f16_e32 v46, v80, v81
	v_fma_f16 v44, v41, s5, v36
	v_fma_f16 v36, v41, s4, v36
	v_add_f16_e32 v41, v15, v80
	v_fma_f16 v15, v46, -0.5, v15
	v_sub_f16_e32 v46, v48, v68
	v_fma_f16 v78, v46, s4, v15
	v_fma_f16 v15, v46, s5, v15
	v_add_f16_e32 v46, v47, v48
	v_mul_f16_sdwa v86, v74, v21 dst_sel:DWORD dst_unused:UNUSED_PAD src0_sel:DWORD src1_sel:WORD_1
	v_add_f16_e32 v34, v34, v79
	v_add_f16_e32 v79, v46, v68
	;; [unrolled: 1-line block ×3, first 2 shown]
	v_mul_f16_sdwa v87, v19, v21 dst_sel:DWORD dst_unused:UNUSED_PAD src0_sel:DWORD src1_sel:WORD_1
	v_mul_f16_sdwa v88, v75, v22 dst_sel:DWORD dst_unused:UNUSED_PAD src0_sel:DWORD src1_sel:WORD_1
	v_fma_f16 v19, v19, v21, -v86
	v_fma_f16 v46, v46, -0.5, v47
	v_sub_f16_e32 v47, v80, v81
	v_mul_f16_sdwa v89, v38, v22 dst_sel:DWORD dst_unused:UNUSED_PAD src0_sel:DWORD src1_sel:WORD_1
	v_fma_f16 v38, v38, v22, -v88
	v_add_f16_e32 v41, v41, v81
	v_fma_f16 v80, v47, s5, v46
	v_fma_f16 v81, v47, s4, v46
	v_add_f16_e32 v46, v12, v19
	v_fma_f16 v74, v74, v21, v87
	v_fma_f16 v75, v75, v22, v89
	v_add_f16_e32 v82, v46, v38
	v_add_f16_e32 v46, v19, v38
	v_fma_f16 v12, v46, -0.5, v12
	v_sub_f16_e32 v46, v74, v75
	v_fma_f16 v83, v46, s4, v12
	v_fma_f16 v12, v46, s5, v12
	v_add_f16_e32 v46, v69, v74
	v_add_f16_e32 v84, v46, v75
	;; [unrolled: 1-line block ×3, first 2 shown]
	v_fma_f16 v46, v46, -0.5, v69
	v_sub_f16_e32 v19, v19, v38
	v_fma_f16 v38, v19, s5, v46
	v_fma_f16 v19, v19, s4, v46
	v_add_f16_e32 v46, v13, v16
	v_fma_f16 v47, v46, -0.5, v32
	v_sub_f16_e32 v48, v17, v18
	v_fma_f16 v46, v48, s4, v47
	v_fma_f16 v47, v48, s5, v47
	v_add_f16_e32 v48, v17, v18
	v_fma_f16 v68, v48, -0.5, v33
	v_sub_f16_e32 v69, v13, v16
	v_fma_f16 v48, v69, s5, v68
	v_fma_f16 v75, v69, s4, v68
	v_add_lshl_u32 v68, v39, v40, 2
	v_pack_b32_f16 v14, v14, v36
	v_pack_b32_f16 v34, v34, v35
	;; [unrolled: 1-line block ×3, first 2 shown]
	ds_write_b32 v68, v14 offset:208
	v_mul_u32_u24_e32 v14, 0x4e, v42
	ds_write2_b32 v68, v34, v35 offset1:26
	v_add_lshl_u32 v69, v14, v43, 2
	v_pack_b32_f16 v14, v41, v79
	v_pack_b32_f16 v34, v78, v80
	ds_write2_b32 v69, v14, v34 offset1:26
	v_pack_b32_f16 v14, v15, v81
	ds_write_b32 v69, v14 offset:208
	v_mad_legacy_u16 v14, v70, s16, v73
	v_lshlrev_b32_e32 v70, 2, v14
	v_pack_b32_f16 v14, v82, v84
	v_pack_b32_f16 v15, v83, v38
	;; [unrolled: 1-line block ×3, first 2 shown]
	ds_write2_b32 v70, v14, v15 offset1:26
	ds_write_b32 v70, v12 offset:208
	s_and_saveexec_b64 s[4:5], s[2:3]
	s_cbranch_execz .LBB0_9
; %bb.8:
	v_add_f16_e32 v12, v33, v17
	v_add_f16_e32 v13, v32, v13
	v_add_f16_e32 v12, v12, v18
	v_add_f16_e32 v13, v13, v16
	v_mad_legacy_u16 v14, v66, s16, v67
	s_mov_b32 s17, 0x5040100
	v_lshlrev_b32_e32 v14, 2, v14
	v_pack_b32_f16 v12, v13, v12
	v_perm_b32 v13, v48, v46, s17
	ds_write2_b32 v14, v12, v13 offset1:26
	v_perm_b32 v12, v75, v47, s17
	ds_write_b32 v14, v12 offset:208
.LBB0_9:
	s_or_b64 exec, exec, s[4:5]
	s_movk_i32 s4, 0xffb2
	v_add_co_u32_e32 v12, vcc, s4, v59
	v_addc_co_u32_e64 v13, s[4:5], 0, -1, vcc
	v_cmp_gt_u16_e32 vcc, s16, v59
	v_lshrrev_b16_e32 v16, 1, v31
	v_cndmask_b32_e64 v33, v13, 0, vcc
	v_cndmask_b32_e32 v32, v12, v59, vcc
	v_and_b32_e32 v16, 0x7f, v16
	v_lshlrev_b64 v[12:13], 4, v[32:33]
	v_mul_lo_u16_e32 v16, 0xd3, v16
	v_lshrrev_b16_e32 v43, 13, v16
	v_mov_b32_e32 v14, s15
	v_add_co_u32_e32 v12, vcc, s14, v12
	v_mul_lo_u16_e32 v16, 0x4e, v43
	v_addc_co_u32_e32 v13, vcc, v14, v13, vcc
	v_sub_u16_e32 v16, v31, v16
	s_waitcnt lgkmcnt(0)
	s_barrier
	global_load_dwordx4 v[12:15], v[12:13], off offset:304
	v_and_b32_e32 v31, 0xff, v16
	v_lshlrev_b32_e32 v16, 4, v31
	global_load_dwordx4 v[16:19], v16, s[14:15] offset:304
	v_add_u32_e32 v35, 0x200, v51
	v_add_u32_e32 v39, 0xa00, v51
	;; [unrolled: 1-line block ×3, first 2 shown]
	ds_read2_b32 v[33:34], v51 offset1:117
	v_add_u32_e32 v78, 0x600, v51
	ds_read2_b32 v[35:36], v35 offset0:106 offset1:223
	ds_read2_b32 v[37:38], v78 offset0:84 offset1:201
	;; [unrolled: 1-line block ×4, first 2 shown]
	s_movk_i32 s4, 0x3b9c
	s_waitcnt lgkmcnt(3)
	v_lshrrev_b32_e32 v74, 16, v35
	s_waitcnt lgkmcnt(2)
	v_lshrrev_b32_e32 v79, 16, v37
	s_waitcnt lgkmcnt(1)
	v_lshrrev_b32_e32 v80, 16, v39
	s_waitcnt lgkmcnt(0)
	v_lshrrev_b32_e32 v81, 16, v41
	v_lshrrev_b32_e32 v82, 16, v36
	v_lshrrev_b32_e32 v83, 16, v38
	;; [unrolled: 1-line block ×3, first 2 shown]
	s_mov_b32 s17, 0xbb9c
	s_movk_i32 s5, 0x38b4
	s_mov_b32 s18, 0xb8b4
	v_lshrrev_b32_e32 v44, 16, v33
	s_movk_i32 s16, 0x34f2
	v_lshrrev_b32_e32 v85, 16, v42
	v_lshrrev_b32_e32 v73, 16, v34
	s_waitcnt vmcnt(0)
	s_barrier
	v_mul_f16_sdwa v88, v79, v13 dst_sel:DWORD dst_unused:UNUSED_PAD src0_sel:DWORD src1_sel:WORD_1
	v_mul_f16_sdwa v90, v80, v14 dst_sel:DWORD dst_unused:UNUSED_PAD src0_sel:DWORD src1_sel:WORD_1
	v_mul_f16_sdwa v87, v35, v12 dst_sel:DWORD dst_unused:UNUSED_PAD src0_sel:DWORD src1_sel:WORD_1
	v_mul_f16_sdwa v89, v37, v13 dst_sel:DWORD dst_unused:UNUSED_PAD src0_sel:DWORD src1_sel:WORD_1
	v_mul_f16_sdwa v91, v39, v14 dst_sel:DWORD dst_unused:UNUSED_PAD src0_sel:DWORD src1_sel:WORD_1
	v_mul_f16_sdwa v93, v41, v15 dst_sel:DWORD dst_unused:UNUSED_PAD src0_sel:DWORD src1_sel:WORD_1
	v_fma_f16 v37, v37, v13, -v88
	v_fma_f16 v39, v39, v14, -v90
	v_mul_f16_sdwa v86, v74, v12 dst_sel:DWORD dst_unused:UNUSED_PAD src0_sel:DWORD src1_sel:WORD_1
	v_mul_f16_sdwa v92, v81, v15 dst_sel:DWORD dst_unused:UNUSED_PAD src0_sel:DWORD src1_sel:WORD_1
	v_fma_f16 v74, v74, v12, v87
	v_fma_f16 v81, v81, v15, v93
	v_mul_f16_sdwa v87, v36, v16 dst_sel:DWORD dst_unused:UNUSED_PAD src0_sel:DWORD src1_sel:WORD_1
	v_add_f16_e32 v95, v37, v39
	v_fma_f16 v35, v35, v12, -v86
	v_fma_f16 v79, v79, v13, v89
	v_fma_f16 v80, v80, v14, v91
	v_fma_f16 v41, v41, v15, -v92
	v_mul_f16_sdwa v86, v82, v16 dst_sel:DWORD dst_unused:UNUSED_PAD src0_sel:DWORD src1_sel:WORD_1
	v_mul_f16_sdwa v88, v83, v17 dst_sel:DWORD dst_unused:UNUSED_PAD src0_sel:DWORD src1_sel:WORD_1
	;; [unrolled: 1-line block ×4, first 2 shown]
	v_sub_f16_e32 v96, v74, v81
	v_fma_f16 v82, v82, v16, v87
	v_fma_f16 v87, v95, -0.5, v33
	v_mul_f16_sdwa v89, v38, v17 dst_sel:DWORD dst_unused:UNUSED_PAD src0_sel:DWORD src1_sel:WORD_1
	v_add_f16_e32 v94, v33, v35
	v_sub_f16_e32 v97, v79, v80
	v_sub_f16_e32 v98, v35, v37
	;; [unrolled: 1-line block ×3, first 2 shown]
	v_fma_f16 v38, v38, v17, -v88
	v_fma_f16 v40, v40, v18, -v90
	v_fma_f16 v84, v84, v18, v91
	v_fma_f16 v88, v96, s4, v87
	;; [unrolled: 1-line block ×3, first 2 shown]
	v_sub_f16_e32 v90, v37, v35
	v_sub_f16_e32 v91, v39, v41
	v_fma_f16 v36, v36, v16, -v86
	v_fma_f16 v83, v83, v17, v89
	v_add_f16_e32 v86, v94, v37
	v_fma_f16 v88, v97, s5, v88
	v_add_f16_e32 v89, v98, v99
	;; [unrolled: 2-line block ×3, first 2 shown]
	v_add_f16_e32 v91, v79, v80
	v_add_f16_e32 v86, v86, v39
	v_fma_f16 v88, v89, s16, v88
	v_fma_f16 v87, v89, s16, v87
	v_add_f16_e32 v89, v35, v41
	v_fma_f16 v91, v91, -0.5, v44
	v_sub_f16_e32 v35, v35, v41
	v_mul_f16_sdwa v92, v85, v19 dst_sel:DWORD dst_unused:UNUSED_PAD src0_sel:DWORD src1_sel:WORD_1
	v_add_f16_e32 v86, v86, v41
	v_fma_f16 v41, v35, s17, v91
	v_sub_f16_e32 v37, v37, v39
	v_mul_f16_sdwa v93, v42, v19 dst_sel:DWORD dst_unused:UNUSED_PAD src0_sel:DWORD src1_sel:WORD_1
	v_fma_f16 v42, v42, v19, -v92
	v_fma_f16 v33, v89, -0.5, v33
	v_fma_f16 v39, v37, s18, v41
	v_sub_f16_e32 v41, v74, v79
	v_sub_f16_e32 v92, v81, v80
	v_fma_f16 v91, v35, s4, v91
	v_fma_f16 v89, v97, s17, v33
	;; [unrolled: 1-line block ×3, first 2 shown]
	v_add_f16_e32 v41, v41, v92
	v_fma_f16 v91, v37, s5, v91
	v_fma_f16 v89, v96, s5, v89
	;; [unrolled: 1-line block ×5, first 2 shown]
	v_add_f16_e32 v91, v74, v81
	v_fma_f16 v89, v90, s16, v89
	v_fma_f16 v33, v90, s16, v33
	v_add_f16_e32 v90, v44, v74
	v_fma_f16 v44, v91, -0.5, v44
	v_add_f16_e32 v90, v90, v79
	v_fma_f16 v91, v37, s4, v44
	v_sub_f16_e32 v74, v79, v74
	v_sub_f16_e32 v79, v80, v81
	v_fma_f16 v37, v37, s17, v44
	v_fma_f16 v85, v85, v19, v93
	;; [unrolled: 1-line block ×3, first 2 shown]
	v_add_f16_e32 v74, v74, v79
	v_fma_f16 v35, v35, s5, v37
	v_add_f16_e32 v44, v38, v40
	v_add_f16_e32 v90, v90, v80
	v_fma_f16 v79, v74, s16, v91
	v_fma_f16 v35, v74, s16, v35
	v_fma_f16 v44, v44, -0.5, v34
	v_sub_f16_e32 v74, v82, v85
	v_add_f16_e32 v90, v90, v81
	v_fma_f16 v80, v74, s4, v44
	v_sub_f16_e32 v81, v83, v84
	v_sub_f16_e32 v91, v36, v38
	;; [unrolled: 1-line block ×3, first 2 shown]
	v_fma_f16 v44, v74, s17, v44
	v_fma_f16 v80, v81, s5, v80
	v_add_f16_e32 v91, v91, v92
	v_fma_f16 v44, v81, s18, v44
	v_fma_f16 v92, v91, s16, v80
	v_fma_f16 v80, v91, s16, v44
	v_add_f16_e32 v44, v36, v42
	v_add_f16_e32 v37, v34, v36
	v_fma_f16 v34, v44, -0.5, v34
	v_fma_f16 v44, v81, s17, v34
	v_fma_f16 v34, v81, s4, v34
	;; [unrolled: 1-line block ×4, first 2 shown]
	v_add_f16_e32 v74, v73, v82
	v_sub_f16_e32 v91, v38, v36
	v_sub_f16_e32 v93, v40, v42
	v_add_f16_e32 v74, v74, v83
	v_add_f16_e32 v91, v91, v93
	;; [unrolled: 1-line block ×4, first 2 shown]
	v_fma_f16 v44, v91, s16, v44
	v_fma_f16 v34, v91, s16, v34
	v_add_f16_e32 v91, v74, v85
	v_add_f16_e32 v74, v83, v84
	;; [unrolled: 1-line block ×3, first 2 shown]
	v_fma_f16 v74, v74, -0.5, v73
	v_sub_f16_e32 v36, v36, v42
	v_add_f16_e32 v37, v37, v42
	v_fma_f16 v42, v36, s17, v74
	v_sub_f16_e32 v38, v38, v40
	v_fma_f16 v40, v38, s18, v42
	v_sub_f16_e32 v42, v82, v83
	v_sub_f16_e32 v81, v85, v84
	v_fma_f16 v74, v36, s4, v74
	v_add_f16_e32 v42, v42, v81
	v_fma_f16 v74, v38, s5, v74
	v_fma_f16 v40, v42, s16, v40
	;; [unrolled: 1-line block ×3, first 2 shown]
	v_add_f16_e32 v42, v82, v85
	v_fma_f16 v42, v42, -0.5, v73
	v_fma_f16 v73, v38, s4, v42
	v_fma_f16 v38, v38, s17, v42
	s_movk_i32 s4, 0x4d
	v_fma_f16 v73, v36, s18, v73
	v_sub_f16_e32 v74, v83, v82
	v_sub_f16_e32 v82, v84, v85
	v_fma_f16 v36, v36, s5, v38
	v_mov_b32_e32 v38, 0x186
	v_cmp_lt_u16_e32 vcc, s4, v59
	v_add_f16_e32 v74, v74, v82
	v_cndmask_b32_e32 v38, 0, v38, vcc
	v_fma_f16 v82, v74, s16, v73
	v_add_lshl_u32 v73, v32, v38, 2
	v_pack_b32_f16 v32, v86, v90
	v_pack_b32_f16 v38, v88, v39
	ds_write2_b32 v73, v32, v38 offset1:78
	v_pack_b32_f16 v32, v89, v79
	v_pack_b32_f16 v33, v33, v35
	ds_write2_b32 v73, v32, v33 offset0:156 offset1:234
	v_pack_b32_f16 v32, v87, v41
	ds_write_b32 v73, v32 offset:1248
	v_mul_u32_u24_e32 v32, 0x186, v43
	v_fma_f16 v36, v74, s16, v36
	v_add_lshl_u32 v74, v32, v31, 2
	v_pack_b32_f16 v31, v37, v91
	v_pack_b32_f16 v32, v92, v40
	ds_write2_b32 v74, v31, v32 offset1:78
	v_pack_b32_f16 v31, v44, v82
	v_pack_b32_f16 v32, v34, v36
	ds_write2_b32 v74, v31, v32 offset0:156 offset1:234
	v_pack_b32_f16 v31, v80, v81
	ds_write_b32 v74, v31 offset:1248
	v_add_u32_e32 v31, 0x300, v51
	s_waitcnt lgkmcnt(0)
	s_barrier
	ds_read2_b32 v[37:38], v31 offset0:42 offset1:198
	v_add_u32_e32 v31, 0xc00, v51
	ds_read2_b32 v[41:42], v51 offset1:117
	ds_read2_b32 v[43:44], v31 offset0:12 offset1:129
	ds_read2_b32 v[39:40], v78 offset0:123 offset1:240
	ds_read_b32 v79, v51 offset:4056
	s_and_saveexec_b64 s[4:5], s[2:3]
	s_cbranch_execz .LBB0_11
; %bb.10:
	ds_read_b32 v80, v51 offset:1404
	ds_read_b32 v46, v51 offset:2964
	;; [unrolled: 1-line block ×3, first 2 shown]
	s_waitcnt lgkmcnt(2)
	v_lshrrev_b32_e32 v81, 16, v80
	s_waitcnt lgkmcnt(1)
	v_lshrrev_b32_e32 v48, 16, v46
	;; [unrolled: 2-line block ×3, first 2 shown]
.LBB0_11:
	s_or_b64 exec, exec, s[4:5]
	s_movk_i32 s4, 0xffd9
	v_add_co_u32_e32 v36, vcc, s4, v59
	v_lshlrev_b32_e32 v33, 2, v76
	v_addc_co_u32_e64 v76, s[4:5], 0, -1, vcc
	v_lshlrev_b32_e32 v31, 2, v77
	v_cndmask_b32_e64 v30, v76, v30, s[2:3]
	v_cndmask_b32_e64 v29, v36, v29, s[2:3]
	global_load_dwordx2 v[31:32], v31, s[14:15] offset:1552
	v_lshlrev_b64 v[29:30], 3, v[29:30]
	global_load_dwordx2 v[33:34], v33, s[14:15] offset:1552
	v_mov_b32_e32 v35, s15
	v_add_co_u32_e32 v76, vcc, s14, v29
	v_addc_co_u32_e32 v77, vcc, v35, v30, vcc
	global_load_dwordx2 v[29:30], v[76:77], off offset:1552
	global_load_dwordx2 v[35:36], v65, s[14:15] offset:1552
	s_waitcnt lgkmcnt(4)
	v_lshrrev_b32_e32 v82, 16, v38
	s_waitcnt lgkmcnt(2)
	v_lshrrev_b32_e32 v83, 16, v43
	;; [unrolled: 2-line block ×3, first 2 shown]
	v_lshrrev_b32_e32 v86, 16, v44
	v_lshrrev_b32_e32 v77, 16, v41
	;; [unrolled: 1-line block ×4, first 2 shown]
	s_movk_i32 s4, 0x3aee
	s_mov_b32 s5, 0xbaee
	s_waitcnt lgkmcnt(0)
	v_lshrrev_b32_e32 v89, 16, v79
	v_lshrrev_b32_e32 v87, 16, v37
	v_add_u32_e32 v76, 0xea0, v45
	s_waitcnt vmcnt(3)
	v_mul_f16_sdwa v90, v82, v31 dst_sel:DWORD dst_unused:UNUSED_PAD src0_sel:DWORD src1_sel:WORD_1
	v_mul_f16_sdwa v91, v38, v31 dst_sel:DWORD dst_unused:UNUSED_PAD src0_sel:DWORD src1_sel:WORD_1
	;; [unrolled: 1-line block ×4, first 2 shown]
	s_waitcnt vmcnt(2)
	v_mul_f16_sdwa v94, v85, v33 dst_sel:DWORD dst_unused:UNUSED_PAD src0_sel:DWORD src1_sel:WORD_1
	v_mul_f16_sdwa v95, v39, v33 dst_sel:DWORD dst_unused:UNUSED_PAD src0_sel:DWORD src1_sel:WORD_1
	;; [unrolled: 1-line block ×4, first 2 shown]
	v_fma_f16 v38, v38, v31, -v90
	v_fma_f16 v82, v82, v31, v91
	v_fma_f16 v43, v43, v32, -v92
	v_fma_f16 v83, v83, v32, v93
	;; [unrolled: 2-line block ×4, first 2 shown]
	v_add_f16_e32 v90, v41, v38
	v_add_f16_e32 v91, v38, v43
	v_sub_f16_e32 v92, v82, v83
	v_add_f16_e32 v93, v77, v82
	v_add_f16_e32 v82, v82, v83
	v_sub_f16_e32 v38, v38, v43
	v_add_f16_e32 v95, v39, v44
	v_sub_f16_e32 v96, v85, v86
	v_add_f16_e32 v97, v84, v85
	v_add_f16_e32 v85, v85, v86
	;; [unrolled: 1-line block ×3, first 2 shown]
	v_fma_f16 v41, v91, -0.5, v41
	v_fma_f16 v43, v82, -0.5, v77
	v_add_f16_e32 v94, v42, v39
	v_fma_f16 v42, v95, -0.5, v42
	v_fma_f16 v77, v85, -0.5, v84
	v_fma_f16 v84, v92, s4, v41
	v_fma_f16 v85, v92, s5, v41
	;; [unrolled: 1-line block ×4, first 2 shown]
	s_waitcnt vmcnt(0)
	v_mul_f16_sdwa v38, v88, v35 dst_sel:DWORD dst_unused:UNUSED_PAD src0_sel:DWORD src1_sel:WORD_1
	v_add_f16_e32 v83, v93, v83
	v_add_f16_e32 v82, v94, v44
	v_fma_f16 v93, v96, s4, v42
	v_fma_f16 v94, v96, s5, v42
	v_mul_f16_sdwa v41, v40, v35 dst_sel:DWORD dst_unused:UNUSED_PAD src0_sel:DWORD src1_sel:WORD_1
	v_mul_f16_sdwa v42, v89, v36 dst_sel:DWORD dst_unused:UNUSED_PAD src0_sel:DWORD src1_sel:WORD_1
	;; [unrolled: 1-line block ×3, first 2 shown]
	v_fma_f16 v40, v40, v35, -v38
	v_sub_f16_e32 v39, v39, v44
	v_add_f16_e32 v86, v97, v86
	v_mul_f16_sdwa v43, v79, v36 dst_sel:DWORD dst_unused:UNUSED_PAD src0_sel:DWORD src1_sel:WORD_1
	v_mul_f16_sdwa v96, v46, v29 dst_sel:DWORD dst_unused:UNUSED_PAD src0_sel:DWORD src1_sel:WORD_1
	v_mul_f16_sdwa v97, v75, v30 dst_sel:DWORD dst_unused:UNUSED_PAD src0_sel:DWORD src1_sel:WORD_1
	v_fma_f16 v79, v79, v36, -v42
	v_fma_f16 v38, v46, v29, -v95
	v_fma_f16 v44, v39, s5, v77
	v_fma_f16 v46, v39, s4, v77
	v_add_f16_e32 v39, v37, v40
	v_mul_f16_sdwa v98, v47, v30 dst_sel:DWORD dst_unused:UNUSED_PAD src0_sel:DWORD src1_sel:WORD_1
	v_fma_f16 v88, v88, v35, v41
	v_fma_f16 v89, v89, v36, v43
	v_fma_f16 v41, v47, v30, -v97
	v_add_f16_e32 v47, v39, v79
	v_add_f16_e32 v39, v40, v79
	v_fma_f16 v37, v39, -0.5, v37
	v_sub_f16_e32 v39, v88, v89
	v_fma_f16 v42, v48, v29, v96
	v_fma_f16 v48, v39, s4, v37
	v_fma_f16 v37, v39, s5, v37
	v_add_f16_e32 v39, v87, v88
	v_fma_f16 v43, v75, v30, v98
	v_add_f16_e32 v75, v39, v89
	v_add_f16_e32 v39, v88, v89
	v_fma_f16 v39, v39, -0.5, v87
	v_sub_f16_e32 v40, v40, v79
	v_fma_f16 v87, v40, s5, v39
	v_fma_f16 v88, v40, s4, v39
	v_add_f16_e32 v39, v38, v41
	v_fma_f16 v40, v39, -0.5, v80
	v_sub_f16_e32 v77, v42, v43
	v_pack_b32_f16 v84, v84, v91
	v_fma_f16 v39, v77, s4, v40
	v_fma_f16 v40, v77, s5, v40
	v_add_f16_e32 v77, v42, v43
	v_pack_b32_f16 v83, v90, v83
	ds_write_b32 v51, v84 offset:1560
	v_pack_b32_f16 v84, v85, v92
	v_pack_b32_f16 v82, v82, v86
	;; [unrolled: 1-line block ×3, first 2 shown]
	v_fma_f16 v79, v77, -0.5, v81
	v_sub_f16_e32 v89, v38, v41
	ds_write_b32 v51, v84 offset:3120
	ds_write2_b32 v51, v83, v82 offset1:117
	ds_write_b32 v51, v46 offset:3588
	v_pack_b32_f16 v46, v47, v75
	v_fma_f16 v77, v89, s5, v79
	v_fma_f16 v79, v89, s4, v79
	v_pack_b32_f16 v44, v93, v44
	ds_write_b32 v51, v46 offset:936
	v_pack_b32_f16 v46, v48, v87
	v_pack_b32_f16 v37, v37, v88
	ds_write2_b32 v78, v44, v46 offset0:123 offset1:240
	ds_write_b32 v51, v37 offset:4056
	s_and_saveexec_b64 s[4:5], s[2:3]
	s_cbranch_execz .LBB0_13
; %bb.12:
	v_add_f16_e32 v37, v81, v42
	v_add_f16_e32 v38, v80, v38
	;; [unrolled: 1-line block ×4, first 2 shown]
	v_pack_b32_f16 v37, v38, v37
	s_mov_b32 s14, 0x5040100
	ds_write_b32 v51, v37 offset:1404
	v_perm_b32 v37, v77, v39, s14
	ds_write_b32 v51, v37 offset:2964
	v_perm_b32 v37, v79, v40, s14
	ds_write_b32 v51, v37 offset:4524
.LBB0_13:
	s_or_b64 exec, exec, s[4:5]
	v_lshlrev_b32_e32 v37, 2, v59
	v_mov_b32_e32 v38, s13
	v_add_co_u32_e32 v43, vcc, s12, v37
	v_addc_co_u32_e32 v44, vcc, 0, v38, vcc
	v_add_co_u32_e32 v37, vcc, 0x1248, v43
	v_addc_co_u32_e32 v38, vcc, 0, v44, vcc
	s_waitcnt lgkmcnt(0)
	s_barrier
	global_load_dword v46, v[37:38], off offset:468
	v_add_co_u32_e32 v41, vcc, 0x1000, v43
	v_addc_co_u32_e32 v42, vcc, 0, v44, vcc
	global_load_dword v47, v[41:42], off offset:584
	global_load_dword v48, v[37:38], off offset:2340
	;; [unrolled: 1-line block ×8, first 2 shown]
	s_movk_i32 s4, 0x2000
	v_add_co_u32_e32 v37, vcc, s4, v43
	v_addc_co_u32_e32 v38, vcc, 0, v44, vcc
	global_load_dword v88, v[37:38], off offset:700
	ds_read2_b32 v[37:38], v51 offset1:117
	v_add_u32_e32 v89, 0x600, v51
	v_add_u32_e32 v80, 0xa00, v51
	;; [unrolled: 1-line block ×4, first 2 shown]
	s_waitcnt lgkmcnt(0)
	v_lshrrev_b32_e32 v41, 16, v37
	v_lshrrev_b32_e32 v42, 16, v38
	v_add_u32_e32 v81, 0x800, v51
	v_add_u32_e32 v78, 0xc00, v51
	s_waitcnt vmcnt(8)
	v_mul_f16_sdwa v91, v41, v47 dst_sel:DWORD dst_unused:UNUSED_PAD src0_sel:DWORD src1_sel:WORD_1
	v_mul_f16_sdwa v92, v37, v47 dst_sel:DWORD dst_unused:UNUSED_PAD src0_sel:DWORD src1_sel:WORD_1
	;; [unrolled: 1-line block ×4, first 2 shown]
	v_fma_f16 v43, v38, v46, -v43
	v_fma_f16 v37, v37, v47, -v91
	v_fma_f16 v38, v41, v47, v92
	v_pack_b32_f16 v37, v37, v38
	ds_write_b32 v51, v37
	v_fma_f16 v42, v42, v46, v44
	ds_read2_b32 v[37:38], v89 offset0:84 offset1:201
	v_pack_b32_f16 v91, v43, v42
	ds_read2_b32 v[41:42], v80 offset0:62 offset1:179
	ds_read2_b32 v[43:44], v82 offset0:106 offset1:223
	;; [unrolled: 1-line block ×3, first 2 shown]
	s_waitcnt lgkmcnt(3)
	v_lshrrev_b32_e32 v92, 16, v38
	s_waitcnt vmcnt(7)
	v_mul_f16_sdwa v93, v38, v48 dst_sel:DWORD dst_unused:UNUSED_PAD src0_sel:DWORD src1_sel:WORD_1
	s_waitcnt lgkmcnt(2)
	v_lshrrev_b32_e32 v94, 16, v41
	s_waitcnt vmcnt(6)
	v_mul_f16_sdwa v95, v41, v75 dst_sel:DWORD dst_unused:UNUSED_PAD src0_sel:DWORD src1_sel:WORD_1
	;; [unrolled: 4-line block ×3, first 2 shown]
	v_lshrrev_b32_e32 v98, 16, v42
	s_waitcnt vmcnt(4)
	v_mul_f16_sdwa v99, v42, v84 dst_sel:DWORD dst_unused:UNUSED_PAD src0_sel:DWORD src1_sel:WORD_1
	v_lshrrev_b32_e32 v100, 16, v44
	s_waitcnt vmcnt(3)
	v_mul_f16_sdwa v101, v44, v85 dst_sel:DWORD dst_unused:UNUSED_PAD src0_sel:DWORD src1_sel:WORD_1
	s_waitcnt lgkmcnt(0)
	v_lshrrev_b32_e32 v102, 16, v46
	v_mul_f16_sdwa v105, v92, v48 dst_sel:DWORD dst_unused:UNUSED_PAD src0_sel:DWORD src1_sel:WORD_1
	v_fma_f16 v92, v92, v48, v93
	v_mul_f16_sdwa v93, v94, v75 dst_sel:DWORD dst_unused:UNUSED_PAD src0_sel:DWORD src1_sel:WORD_1
	s_waitcnt vmcnt(2)
	v_mul_f16_sdwa v103, v46, v86 dst_sel:DWORD dst_unused:UNUSED_PAD src0_sel:DWORD src1_sel:WORD_1
	v_lshrrev_b32_e32 v104, 16, v37
	v_fma_f16 v94, v94, v75, v95
	v_mul_f16_sdwa v95, v96, v83 dst_sel:DWORD dst_unused:UNUSED_PAD src0_sel:DWORD src1_sel:WORD_1
	v_fma_f16 v96, v96, v83, v97
	v_mul_f16_sdwa v97, v98, v84 dst_sel:DWORD dst_unused:UNUSED_PAD src0_sel:DWORD src1_sel:WORD_1
	;; [unrolled: 2-line block ×4, first 2 shown]
	v_fma_f16 v38, v38, v48, -v105
	v_fma_f16 v41, v41, v75, -v93
	v_fma_f16 v102, v102, v86, v103
	s_waitcnt vmcnt(1)
	v_mul_f16_sdwa v103, v104, v87 dst_sel:DWORD dst_unused:UNUSED_PAD src0_sel:DWORD src1_sel:WORD_1
	v_fma_f16 v43, v43, v83, -v95
	v_fma_f16 v42, v42, v84, -v97
	;; [unrolled: 1-line block ×3, first 2 shown]
	v_pack_b32_f16 v38, v38, v92
	v_pack_b32_f16 v41, v41, v94
	;; [unrolled: 1-line block ×5, first 2 shown]
	ds_write2_b32 v81, v38, v41 offset0:73 offset1:190
	ds_write2_b32 v51, v91, v43 offset0:117 offset1:234
	;; [unrolled: 1-line block ×3, first 2 shown]
	v_fma_f16 v38, v37, v87, -v103
	v_mul_f16_sdwa v37, v37, v87 dst_sel:DWORD dst_unused:UNUSED_PAD src0_sel:DWORD src1_sel:WORD_1
	v_fma_f16 v44, v44, v85, -v99
	v_fma_f16 v37, v104, v87, v37
	v_pack_b32_f16 v44, v44, v100
	v_pack_b32_f16 v37, v38, v37
	v_add_u32_e32 v85, 0x400, v51
	ds_write2_b32 v85, v44, v37 offset0:95 offset1:212
	v_lshrrev_b32_e32 v37, 16, v47
	s_waitcnt vmcnt(0)
	v_mul_f16_sdwa v38, v37, v88 dst_sel:DWORD dst_unused:UNUSED_PAD src0_sel:DWORD src1_sel:WORD_1
	v_mul_f16_sdwa v41, v47, v88 dst_sel:DWORD dst_unused:UNUSED_PAD src0_sel:DWORD src1_sel:WORD_1
	v_fma_f16 v38, v47, v88, -v38
	v_fma_f16 v37, v37, v88, v41
	v_pack_b32_f16 v37, v38, v37
	ds_write_b32 v51, v37 offset:4212
	s_waitcnt lgkmcnt(0)
	s_barrier
	ds_read2_b32 v[83:84], v51 offset1:117
	ds_read2_b32 v[41:42], v89 offset0:84 offset1:201
	ds_read2_b32 v[43:44], v80 offset0:62 offset1:179
	;; [unrolled: 1-line block ×4, first 2 shown]
	s_waitcnt lgkmcnt(0)
	v_pk_add_f16 v38, v83, v42 neg_lo:[0,1] neg_hi:[0,1]
	v_pk_add_f16 v48, v84, v43 neg_lo:[0,1] neg_hi:[0,1]
	;; [unrolled: 1-line block ×5, first 2 shown]
	v_pk_fma_f16 v37, v83, 2.0, v38 op_sel_hi:[1,0,1] neg_lo:[0,0,1] neg_hi:[0,0,1]
	s_barrier
	ds_write_b64 v45, v[37:38]
	v_pk_fma_f16 v47, v84, 2.0, v48 op_sel_hi:[1,0,1] neg_lo:[0,0,1] neg_hi:[0,0,1]
	v_pk_fma_f16 v45, v86, 2.0, v46 op_sel_hi:[1,0,1] neg_lo:[0,0,1] neg_hi:[0,0,1]
	;; [unrolled: 1-line block ×4, first 2 shown]
	v_lshrrev_b32_e32 v75, 16, v37
	v_lshrrev_b32_e32 v83, 16, v47
	ds_write_b64 v63, v[47:48]
	v_lshrrev_b32_e32 v84, 16, v45
	ds_write_b64 v65, v[45:46]
	;; [unrolled: 2-line block ×4, first 2 shown]
	s_waitcnt lgkmcnt(0)
	s_barrier
	s_and_saveexec_b64 s[4:5], s[0:1]
	s_cbranch_execz .LBB0_15
; %bb.14:
	ds_read2_b32 v[37:38], v51 offset1:90
	ds_read2_b32 v[47:48], v82 offset0:52 offset1:142
	ds_read2_b32 v[45:46], v85 offset0:104 offset1:194
	;; [unrolled: 1-line block ×5, first 2 shown]
	ds_read_b32 v71, v51 offset:4320
	s_waitcnt lgkmcnt(6)
	v_lshrrev_b32_e32 v75, 16, v37
	s_waitcnt lgkmcnt(5)
	v_lshrrev_b32_e32 v83, 16, v47
	;; [unrolled: 2-line block ×6, first 2 shown]
	v_lshrrev_b32_e32 v79, 16, v40
	s_waitcnt lgkmcnt(0)
	v_lshrrev_b32_e32 v72, 16, v71
.LBB0_15:
	s_or_b64 exec, exec, s[4:5]
	v_lshrrev_b32_e32 v76, 16, v38
	v_mul_f16_sdwa v63, v0, v76 dst_sel:DWORD dst_unused:UNUSED_PAD src0_sel:WORD_1 src1_sel:DWORD
	v_fma_f16 v63, v0, v38, v63
	v_mul_f16_sdwa v38, v0, v38 dst_sel:DWORD dst_unused:UNUSED_PAD src0_sel:WORD_1 src1_sel:DWORD
	v_fma_f16 v0, v0, v76, -v38
	v_mul_f16_sdwa v38, v1, v83 dst_sel:DWORD dst_unused:UNUSED_PAD src0_sel:WORD_1 src1_sel:DWORD
	v_fma_f16 v38, v1, v47, v38
	v_mul_f16_sdwa v47, v1, v47 dst_sel:DWORD dst_unused:UNUSED_PAD src0_sel:WORD_1 src1_sel:DWORD
	v_lshrrev_b32_e32 v76, 16, v48
	v_fma_f16 v1, v1, v83, -v47
	v_mul_f16_sdwa v47, v2, v76 dst_sel:DWORD dst_unused:UNUSED_PAD src0_sel:WORD_1 src1_sel:DWORD
	v_fma_f16 v47, v2, v48, v47
	v_mul_f16_sdwa v48, v2, v48 dst_sel:DWORD dst_unused:UNUSED_PAD src0_sel:WORD_1 src1_sel:DWORD
	v_fma_f16 v2, v2, v76, -v48
	v_mul_f16_sdwa v48, v3, v84 dst_sel:DWORD dst_unused:UNUSED_PAD src0_sel:WORD_1 src1_sel:DWORD
	v_fma_f16 v48, v3, v45, v48
	v_mul_f16_sdwa v45, v3, v45 dst_sel:DWORD dst_unused:UNUSED_PAD src0_sel:WORD_1 src1_sel:DWORD
	v_lshrrev_b32_e32 v76, 16, v46
	v_fma_f16 v3, v3, v84, -v45
	v_mul_f16_sdwa v45, v4, v76 dst_sel:DWORD dst_unused:UNUSED_PAD src0_sel:WORD_1 src1_sel:DWORD
	v_fma_f16 v45, v4, v46, v45
	v_mul_f16_sdwa v46, v4, v46 dst_sel:DWORD dst_unused:UNUSED_PAD src0_sel:WORD_1 src1_sel:DWORD
	v_fma_f16 v4, v4, v76, -v46
	v_mul_f16_sdwa v46, v5, v65 dst_sel:DWORD dst_unused:UNUSED_PAD src0_sel:WORD_1 src1_sel:DWORD
	v_fma_f16 v46, v5, v43, v46
	v_mul_f16_sdwa v43, v5, v43 dst_sel:DWORD dst_unused:UNUSED_PAD src0_sel:WORD_1 src1_sel:DWORD
	v_fma_f16 v5, v5, v65, -v43
	v_lshrrev_b32_e32 v65, 16, v44
	v_mul_f16_sdwa v43, v6, v65 dst_sel:DWORD dst_unused:UNUSED_PAD src0_sel:WORD_1 src1_sel:DWORD
	v_fma_f16 v43, v6, v44, v43
	v_mul_f16_sdwa v44, v6, v44 dst_sel:DWORD dst_unused:UNUSED_PAD src0_sel:WORD_1 src1_sel:DWORD
	v_fma_f16 v6, v6, v65, -v44
	v_mul_f16_sdwa v44, v7, v64 dst_sel:DWORD dst_unused:UNUSED_PAD src0_sel:WORD_1 src1_sel:DWORD
	v_fma_f16 v44, v7, v41, v44
	v_mul_f16_sdwa v41, v7, v41 dst_sel:DWORD dst_unused:UNUSED_PAD src0_sel:WORD_1 src1_sel:DWORD
	v_fma_f16 v7, v7, v64, -v41
	v_lshrrev_b32_e32 v41, 16, v42
	v_mul_f16_sdwa v64, v8, v41 dst_sel:DWORD dst_unused:UNUSED_PAD src0_sel:WORD_1 src1_sel:DWORD
	v_fma_f16 v64, v8, v42, v64
	v_mul_f16_sdwa v42, v8, v42 dst_sel:DWORD dst_unused:UNUSED_PAD src0_sel:WORD_1 src1_sel:DWORD
	v_fma_f16 v41, v8, v41, -v42
	v_mul_f16_sdwa v8, v9, v77 dst_sel:DWORD dst_unused:UNUSED_PAD src0_sel:WORD_1 src1_sel:DWORD
	v_fma_f16 v76, v9, v39, v8
	v_mul_f16_sdwa v8, v9, v39 dst_sel:DWORD dst_unused:UNUSED_PAD src0_sel:WORD_1 src1_sel:DWORD
	v_fma_f16 v39, v9, v77, -v8
	;; [unrolled: 4-line block ×4, first 2 shown]
	v_sub_f16_e32 v83, v0, v42
	v_add_f16_e32 v10, v78, v63
	v_add_f16_e32 v86, v42, v0
	s_movk_i32 s12, 0x388b
	v_mul_f16_e32 v89, 0xba95, v83
	v_sub_f16_e32 v87, v1, v40
	v_sub_f16_e32 v71, v63, v78
	s_mov_b32 s15, 0xba95
	v_mul_f16_e32 v92, 0x388b, v86
	v_fma_f16 v8, v10, s12, -v89
	s_mov_b32 s14, 0xb5ac
	v_add_f16_e32 v80, v77, v38
	v_add_f16_e32 v91, v40, v1
	v_mul_f16_e32 v95, 0xbb7b, v87
	v_add_f16_e32 v8, v37, v8
	v_fma_f16 v9, v71, s15, v92
	s_movk_i32 s13, 0x2fb7
	v_mul_f16_e32 v98, 0xbbf1, v83
	s_mov_b32 s17, 0xbb7b
	v_sub_f16_e32 v81, v38, v77
	v_mul_f16_e32 v100, 0xb5ac, v91
	v_fma_f16 v82, v80, s14, -v95
	v_add_f16_e32 v9, v75, v9
	s_mov_b32 s16, 0xbbf1
	v_mul_f16_e32 v102, 0x2fb7, v86
	v_fma_f16 v11, v10, s13, -v98
	v_add_f16_e32 v8, v82, v8
	v_fma_f16 v82, v81, s17, v100
	s_mov_b32 s18, 0xbbc4
	v_mul_f16_e32 v106, 0xb3a8, v87
	v_add_f16_e32 v11, v37, v11
	v_fma_f16 v65, v71, s16, v102
	v_mul_f16_e32 v108, 0xbb7b, v83
	v_add_f16_e32 v9, v82, v9
	s_mov_b32 s20, 0xb3a8
	v_mul_f16_e32 v109, 0xbbc4, v91
	v_fma_f16 v82, v80, s18, -v106
	v_add_f16_e32 v65, v75, v65
	v_mul_f16_e32 v113, 0xb5ac, v86
	v_fma_f16 v72, v10, s14, -v108
	v_add_f16_e32 v11, v82, v11
	v_fma_f16 v82, v81, s20, v109
	v_mul_f16_e32 v116, 0x394e, v87
	v_add_f16_e32 v72, v37, v72
	v_fma_f16 v79, v71, s17, v113
	v_add_f16_e32 v65, v82, v65
	s_movk_i32 s22, 0x394e
	v_mul_f16_e32 v120, 0xb9fd, v91
	v_fma_f16 v82, v80, s19, -v116
	v_add_f16_e32 v79, v75, v79
	v_add_f16_e32 v72, v82, v72
	v_fma_f16 v82, v81, s22, v120
	v_sub_f16_e32 v93, v2, v39
	v_add_f16_e32 v79, v82, v79
	v_add_f16_e32 v82, v76, v47
	;; [unrolled: 1-line block ×3, first 2 shown]
	v_mul_f16_e32 v103, 0xb3a8, v93
	v_sub_f16_e32 v84, v47, v76
	v_mul_f16_e32 v107, 0xbbc4, v97
	v_fma_f16 v85, v82, s18, -v103
	v_add_f16_e32 v8, v85, v8
	v_fma_f16 v85, v84, s20, v107
	v_mul_f16_e32 v114, 0x3b7b, v93
	v_add_f16_e32 v9, v85, v9
	s_movk_i32 s23, 0x3b7b
	v_mul_f16_e32 v117, 0xb5ac, v97
	v_fma_f16 v85, v82, s14, -v114
	v_add_f16_e32 v11, v85, v11
	v_fma_f16 v85, v84, s23, v117
	s_movk_i32 s21, 0x3b15
	v_mul_f16_e32 v123, 0x3770, v93
	v_add_f16_e32 v65, v85, v65
	s_movk_i32 s25, 0x3770
	v_mul_f16_e32 v127, 0x3b15, v97
	v_fma_f16 v85, v82, s21, -v123
	v_add_f16_e32 v72, v85, v72
	v_fma_f16 v85, v84, s25, v127
	v_sub_f16_e32 v99, v3, v41
	v_add_f16_e32 v79, v85, v79
	v_add_f16_e32 v85, v64, v48
	;; [unrolled: 1-line block ×3, first 2 shown]
	v_mul_f16_e32 v110, 0x394e, v99
	v_sub_f16_e32 v88, v48, v64
	v_mul_f16_e32 v115, 0xb9fd, v104
	v_fma_f16 v90, v85, s19, -v110
	v_add_f16_e32 v8, v90, v8
	v_fma_f16 v90, v88, s22, v115
	v_mul_f16_e32 v121, 0x3770, v99
	v_add_f16_e32 v9, v90, v9
	v_mul_f16_e32 v125, 0x3b15, v104
	v_fma_f16 v90, v85, s21, -v121
	v_add_f16_e32 v11, v90, v11
	v_fma_f16 v90, v88, s25, v125
	v_mul_f16_e32 v129, 0xbbf1, v99
	v_add_f16_e32 v65, v90, v65
	v_mul_f16_e32 v131, 0x2fb7, v104
	v_fma_f16 v90, v85, s13, -v129
	v_add_f16_e32 v72, v90, v72
	v_fma_f16 v90, v88, s16, v131
	v_sub_f16_e32 v105, v4, v7
	v_add_f16_e32 v79, v90, v79
	v_add_f16_e32 v90, v44, v45
	;; [unrolled: 1-line block ×3, first 2 shown]
	v_mul_f16_e32 v118, 0x3bf1, v105
	v_sub_f16_e32 v94, v45, v44
	s_movk_i32 s26, 0x3bf1
	v_mul_f16_e32 v122, 0x2fb7, v111
	v_fma_f16 v96, v90, s13, -v118
	v_add_f16_e32 v8, v96, v8
	v_fma_f16 v96, v94, s26, v122
	v_mul_f16_e32 v126, 0xba95, v105
	v_add_f16_e32 v9, v96, v9
	v_mul_f16_e32 v130, 0x388b, v111
	v_fma_f16 v96, v90, s12, -v126
	v_add_f16_e32 v136, v96, v11
	v_fma_f16 v11, v94, s15, v130
	v_mul_f16_e32 v133, 0x33a8, v105
	v_add_f16_e32 v137, v11, v65
	s_movk_i32 s27, 0x33a8
	v_mul_f16_e32 v135, 0xbbc4, v111
	v_fma_f16 v11, v90, s18, -v133
	v_sub_f16_e32 v112, v5, v6
	v_add_f16_e32 v138, v11, v72
	v_fma_f16 v11, v94, s27, v135
	v_add_f16_e32 v96, v43, v46
	v_add_f16_e32 v119, v6, v5
	v_mul_f16_e32 v124, 0x3770, v112
	v_add_f16_e32 v139, v11, v79
	v_sub_f16_e32 v101, v46, v43
	v_mul_f16_e32 v128, 0x3b15, v119
	v_fma_f16 v11, v96, s21, -v124
	v_add_f16_e32 v11, v11, v8
	v_fma_f16 v8, v101, s25, v128
	v_mul_f16_e32 v132, 0xb94e, v112
	v_add_f16_e32 v65, v8, v9
	s_mov_b32 s24, 0xb94e
	v_mul_f16_e32 v134, 0xb9fd, v119
	v_fma_f16 v8, v96, s19, -v132
	v_add_f16_e32 v72, v8, v136
	v_fma_f16 v8, v101, s24, v134
	v_add_f16_e32 v79, v8, v137
	s_movk_i32 s28, 0x3a95
	v_mul_f16_e32 v136, 0x3a95, v112
	v_mul_f16_e32 v137, 0x388b, v119
	v_fma_f16 v8, v96, s12, -v136
	v_fma_f16 v9, v101, s28, v137
	v_add_f16_e32 v8, v8, v138
	v_add_f16_e32 v9, v9, v139
	s_barrier
	s_and_saveexec_b64 s[4:5], s[0:1]
	s_cbranch_execz .LBB0_17
; %bb.16:
	v_mul_f16_e32 v174, 0xb94e, v71
	v_fma_f16 v175, v86, s19, v174
	v_mul_f16_e32 v176, 0x3bf1, v81
	v_add_f16_e32 v175, v75, v175
	v_fma_f16 v177, v91, s13, v176
	v_add_f16_e32 v175, v177, v175
	v_mul_f16_e32 v177, 0xba95, v84
	v_fma_f16 v178, v97, s12, v177
	v_add_f16_e32 v175, v178, v175
	v_mul_f16_e32 v178, 0x33a8, v88
	;; [unrolled: 3-line block ×5, first 2 shown]
	v_fma_f16 v182, v10, s19, -v181
	v_mul_f16_e32 v183, 0x3bf1, v87
	v_add_f16_e32 v182, v37, v182
	v_fma_f16 v184, v80, s13, -v183
	v_add_f16_e32 v182, v184, v182
	v_mul_f16_e32 v184, 0xba95, v93
	v_fma_f16 v185, v82, s12, -v184
	v_add_f16_e32 v182, v185, v182
	v_mul_f16_e32 v185, 0x33a8, v99
	v_fma_f16 v186, v85, s18, -v185
	v_add_f16_e32 v182, v186, v182
	v_mul_f16_e32 v186, 0x3770, v105
	v_fma_f16 v187, v90, s21, -v186
	v_add_f16_e32 v182, v187, v182
	v_mul_f16_e32 v187, 0xbb7b, v112
	v_mul_f16_e32 v138, 0x388b, v10
	v_fma_f16 v188, v96, s14, -v187
	v_mul_f16_e32 v139, 0xba95, v71
	v_mul_f16_e32 v144, 0xb5ac, v80
	v_add_f16_e32 v182, v188, v182
	v_mul_f16_e32 v188, 0xb3a8, v71
	v_add_f16_e32 v89, v138, v89
	v_mul_f16_e32 v145, 0xbb7b, v81
	v_mul_f16_e32 v150, 0xbbc4, v82
	v_fma_f16 v189, v86, s18, v188
	v_mul_f16_e32 v190, 0x3770, v81
	v_sub_f16_e32 v92, v92, v139
	v_add_f16_e32 v89, v37, v89
	v_add_f16_e32 v95, v144, v95
	v_mul_f16_e32 v151, 0xb3a8, v84
	v_mul_f16_e32 v156, 0xb9fd, v85
	v_add_f16_e32 v189, v75, v189
	v_fma_f16 v191, v91, s21, v190
	v_add_f16_e32 v92, v75, v92
	v_sub_f16_e32 v100, v100, v145
	v_add_f16_e32 v89, v95, v89
	v_add_f16_e32 v95, v150, v103
	v_mul_f16_e32 v157, 0x394e, v88
	v_mul_f16_e32 v162, 0x2fb7, v90
	v_add_f16_e32 v189, v191, v189
	v_mul_f16_e32 v191, 0xb94e, v84
	v_add_f16_e32 v92, v100, v92
	v_sub_f16_e32 v100, v107, v151
	v_add_f16_e32 v89, v95, v89
	v_add_f16_e32 v95, v156, v110
	v_mul_f16_e32 v163, 0x3bf1, v94
	v_mul_f16_e32 v168, 0x3b15, v96
	v_fma_f16 v192, v97, s19, v191
	v_add_f16_e32 v92, v100, v92
	v_sub_f16_e32 v100, v115, v157
	v_add_f16_e32 v89, v95, v89
	v_add_f16_e32 v95, v162, v118
	v_mul_f16_e32 v169, 0x3770, v101
	v_add_f16_e32 v189, v192, v189
	v_mul_f16_e32 v192, 0x3a95, v88
	v_fma_f16 v188, v86, s18, -v188
	v_fma_f16 v174, v86, s19, -v174
	v_add_f16_e32 v92, v100, v92
	v_sub_f16_e32 v100, v122, v163
	v_add_f16_e32 v89, v95, v89
	v_add_f16_e32 v95, v168, v124
	v_mul_f16_e32 v86, 0x3b15, v86
	v_fma_f16 v193, v104, s12, v192
	v_add_f16_e32 v188, v75, v188
	v_fma_f16 v190, v91, s21, -v190
	v_add_f16_e32 v174, v75, v174
	v_fma_f16 v176, v91, s13, -v176
	v_add_f16_e32 v92, v100, v92
	v_sub_f16_e32 v100, v128, v169
	v_add_f16_e32 v89, v95, v89
	v_fma_f16 v95, v71, s25, v86
	v_mul_f16_e32 v91, 0x388b, v91
	v_mul_f16_e32 v140, 0x2fb7, v10
	v_add_f16_e32 v189, v193, v189
	v_mul_f16_e32 v193, 0xbb7b, v94
	v_add_f16_e32 v188, v190, v188
	v_fma_f16 v190, v97, s19, -v191
	v_add_f16_e32 v174, v176, v174
	v_fma_f16 v176, v97, s12, -v177
	v_add_f16_e32 v92, v100, v92
	v_add_f16_e32 v95, v75, v95
	v_fma_f16 v100, v81, s28, v91
	v_mul_f16_e32 v97, 0x2fb7, v97
	v_mul_f16_e32 v146, 0xbbc4, v80
	v_fma_f16 v194, v111, s14, v193
	v_add_f16_e32 v98, v140, v98
	v_add_f16_e32 v95, v100, v95
	v_fma_f16 v100, v84, s26, v97
	v_mul_f16_e32 v152, 0xb5ac, v82
	v_add_f16_e32 v189, v194, v189
	v_mul_f16_e32 v194, 0x3bf1, v101
	v_add_f16_e32 v98, v37, v98
	v_add_f16_e32 v106, v146, v106
	;; [unrolled: 1-line block ×3, first 2 shown]
	v_mul_f16_e32 v100, 0xb5ac, v104
	s_mov_b32 s0, 0xb770
	v_add_f16_e32 v0, v0, v75
	v_mul_f16_e32 v158, 0x3b15, v85
	v_fma_f16 v195, v119, s13, v194
	v_add_f16_e32 v98, v106, v98
	v_add_f16_e32 v106, v152, v114
	v_fma_f16 v103, v88, s23, v100
	v_add_f16_e32 v0, v1, v0
	v_fma_f16 v1, v71, s0, v86
	v_mul_f16_e32 v164, 0x388b, v90
	v_add_f16_e32 v189, v195, v189
	v_mul_f16_e32 v195, 0xb3a8, v83
	v_add_f16_e32 v98, v106, v98
	v_add_f16_e32 v106, v158, v121
	;; [unrolled: 1-line block ×3, first 2 shown]
	v_mul_f16_e32 v103, 0xb9fd, v111
	v_add_f16_e32 v0, v2, v0
	v_add_f16_e32 v1, v75, v1
	v_fma_f16 v2, v81, s15, v91
	v_mul_f16_e32 v170, 0xb9fd, v96
	v_fma_f16 v196, v10, s18, -v195
	v_mul_f16_e32 v197, 0x3770, v87
	v_add_f16_e32 v188, v190, v188
	v_fma_f16 v190, v104, s12, -v192
	v_add_f16_e32 v174, v176, v174
	v_fma_f16 v176, v104, s18, -v178
	v_add_f16_e32 v98, v106, v98
	v_add_f16_e32 v106, v164, v126
	v_fma_f16 v104, v94, s22, v103
	v_add_f16_e32 v63, v37, v63
	v_add_f16_e32 v1, v2, v1
	v_fma_f16 v2, v84, s16, v97
	v_add_f16_e32 v196, v37, v196
	v_fma_f16 v198, v80, s21, -v197
	v_add_f16_e32 v98, v106, v98
	v_add_f16_e32 v106, v170, v132
	;; [unrolled: 1-line block ×3, first 2 shown]
	v_mul_f16_e32 v104, 0xbbc4, v119
	v_add_f16_e32 v38, v38, v63
	v_add_f16_e32 v1, v2, v1
	v_fma_f16 v2, v88, s17, v100
	v_add_f16_e32 v196, v198, v196
	v_mul_f16_e32 v198, 0xb94e, v93
	v_add_f16_e32 v98, v106, v98
	v_fma_f16 v106, v101, s27, v104
	v_mul_f16_e32 v83, 0xb770, v83
	v_add_f16_e32 v38, v47, v38
	v_add_f16_e32 v1, v2, v1
	v_fma_f16 v2, v94, s24, v103
	v_mul_f16_e32 v141, 0xbbf1, v71
	v_fma_f16 v199, v82, s19, -v198
	v_add_f16_e32 v95, v106, v95
	v_fma_f16 v106, v10, s21, v83
	v_mul_f16_e32 v87, 0xba95, v87
	v_add_f16_e32 v38, v48, v38
	v_add_f16_e32 v0, v3, v0
	;; [unrolled: 1-line block ×3, first 2 shown]
	v_fma_f16 v2, v101, s20, v104
	v_mul_f16_e32 v147, 0xb3a8, v81
	v_add_f16_e32 v196, v199, v196
	v_mul_f16_e32 v199, 0x3a95, v99
	v_sub_f16_e32 v102, v102, v141
	v_add_f16_e32 v106, v37, v106
	v_fma_f16 v107, v80, s12, v87
	v_mul_f16_e32 v93, 0xbbf1, v93
	v_add_f16_e32 v38, v45, v38
	v_add_f16_e32 v0, v4, v0
	;; [unrolled: 1-line block ×3, first 2 shown]
	v_fma_f16 v2, v10, s21, -v83
	v_mul_f16_e32 v153, 0x3b7b, v84
	v_fma_f16 v200, v85, s12, -v199
	v_add_f16_e32 v174, v176, v174
	v_fma_f16 v176, v111, s21, -v179
	v_add_f16_e32 v102, v75, v102
	v_sub_f16_e32 v109, v109, v147
	v_add_f16_e32 v106, v107, v106
	v_fma_f16 v107, v82, s13, v93
	v_mul_f16_e32 v99, 0xbb7b, v99
	v_add_f16_e32 v38, v46, v38
	v_add_f16_e32 v0, v5, v0
	v_add_f16_e32 v2, v37, v2
	v_fma_f16 v3, v80, s12, -v87
	v_mul_f16_e32 v142, 0xb5ac, v10
	v_mul_f16_e32 v143, 0xbb7b, v71
	;; [unrolled: 1-line block ×3, first 2 shown]
	v_add_f16_e32 v196, v200, v196
	v_mul_f16_e32 v200, 0xbb7b, v105
	v_add_f16_e32 v188, v190, v188
	v_fma_f16 v190, v111, s14, -v193
	v_add_f16_e32 v174, v176, v174
	v_fma_f16 v176, v119, s14, -v180
	v_add_f16_e32 v102, v109, v102
	v_sub_f16_e32 v109, v117, v153
	v_add_f16_e32 v106, v107, v106
	v_fma_f16 v107, v85, s14, v99
	v_mul_f16_e32 v105, 0xb94e, v105
	v_add_f16_e32 v38, v43, v38
	v_add_f16_e32 v0, v6, v0
	v_add_f16_e32 v2, v3, v2
	v_fma_f16 v3, v82, s13, -v93
	v_mul_f16_e32 v148, 0xb9fd, v80
	v_mul_f16_e32 v149, 0x394e, v81
	;; [unrolled: 1-line block ×3, first 2 shown]
	v_add_f16_e32 v188, v190, v188
	v_fma_f16 v190, v119, s13, -v194
	v_add_f16_e32 v174, v176, v174
	v_fma_f16 v176, v10, s19, v181
	v_sub_f16_e32 v113, v113, v143
	v_add_f16_e32 v108, v142, v108
	v_add_f16_e32 v102, v109, v102
	v_sub_f16_e32 v109, v125, v159
	v_add_f16_e32 v106, v107, v106
	v_fma_f16 v107, v90, s19, v105
	v_add_f16_e32 v38, v44, v38
	v_add_f16_e32 v0, v7, v0
	;; [unrolled: 1-line block ×3, first 2 shown]
	v_fma_f16 v3, v85, s14, -v99
	v_mul_f16_e32 v154, 0x3b15, v82
	v_mul_f16_e32 v155, 0x3770, v84
	;; [unrolled: 1-line block ×3, first 2 shown]
	v_add_f16_e32 v188, v190, v188
	v_fma_f16 v190, v10, s18, v195
	v_add_f16_e32 v176, v37, v176
	v_fma_f16 v177, v80, s13, v183
	v_add_f16_e32 v113, v75, v113
	v_sub_f16_e32 v120, v120, v149
	v_add_f16_e32 v108, v37, v108
	v_add_f16_e32 v116, v148, v116
	;; [unrolled: 1-line block ×3, first 2 shown]
	v_sub_f16_e32 v109, v130, v165
	v_add_f16_e32 v106, v107, v106
	v_mul_f16_e32 v107, 0xb3a8, v112
	v_add_f16_e32 v38, v64, v38
	v_add_f16_e32 v0, v41, v0
	;; [unrolled: 1-line block ×3, first 2 shown]
	v_fma_f16 v3, v90, s19, -v105
	v_mul_f16_e32 v160, 0x2fb7, v85
	v_mul_f16_e32 v161, 0xbbf1, v88
	v_add_f16_e32 v190, v37, v190
	v_fma_f16 v191, v80, s21, v197
	v_add_f16_e32 v176, v177, v176
	v_fma_f16 v177, v82, s12, v184
	v_add_f16_e32 v113, v120, v113
	v_sub_f16_e32 v120, v127, v155
	v_add_f16_e32 v108, v116, v108
	v_add_f16_e32 v116, v154, v123
	;; [unrolled: 1-line block ×3, first 2 shown]
	v_sub_f16_e32 v109, v134, v171
	v_add_f16_e32 v38, v76, v38
	v_add_f16_e32 v0, v39, v0
	;; [unrolled: 1-line block ×3, first 2 shown]
	v_fma_f16 v3, v96, s18, -v107
	v_mul_f16_e32 v166, 0xbbc4, v90
	v_mul_f16_e32 v167, 0x33a8, v94
	v_add_f16_e32 v190, v191, v190
	v_fma_f16 v191, v82, s19, v198
	v_add_f16_e32 v176, v177, v176
	v_fma_f16 v177, v85, s18, v185
	v_add_f16_e32 v113, v120, v113
	v_sub_f16_e32 v120, v131, v161
	v_add_f16_e32 v108, v116, v108
	v_add_f16_e32 v116, v160, v129
	;; [unrolled: 1-line block ×3, first 2 shown]
	v_fma_f16 v109, v96, s18, v107
	v_add_f16_e32 v38, v77, v38
	v_add_f16_e32 v0, v40, v0
	;; [unrolled: 1-line block ×3, first 2 shown]
	v_mul_u32_u24_e32 v3, 26, v62
	v_mul_f16_e32 v172, 0x388b, v96
	v_mul_f16_e32 v173, 0x3a95, v101
	v_fma_f16 v201, v90, s14, -v200
	v_add_f16_e32 v190, v191, v190
	v_fma_f16 v191, v85, s12, v199
	v_add_f16_e32 v176, v177, v176
	v_fma_f16 v177, v90, s21, v186
	v_add_f16_e32 v113, v120, v113
	v_sub_f16_e32 v120, v135, v167
	v_add_f16_e32 v108, v116, v108
	v_add_f16_e32 v116, v166, v133
	;; [unrolled: 1-line block ×5, first 2 shown]
	v_or_b32_e32 v3, v3, v61
	v_add_f16_e32 v196, v201, v196
	v_mul_f16_e32 v201, 0x3bf1, v112
	v_add_f16_e32 v190, v191, v190
	v_fma_f16 v191, v90, s14, v200
	v_add_f16_e32 v176, v177, v176
	v_fma_f16 v177, v96, s14, v187
	v_add_f16_e32 v113, v120, v113
	v_sub_f16_e32 v120, v137, v173
	v_add_f16_e32 v108, v116, v108
	v_add_f16_e32 v116, v172, v136
	v_lshlrev_b32_e32 v3, 2, v3
	v_pack_b32_f16 v0, v38, v0
	v_pack_b32_f16 v4, v106, v95
	v_fma_f16 v202, v96, s13, -v201
	v_add_f16_e32 v190, v191, v190
	v_fma_f16 v191, v96, s13, v201
	v_add_f16_e32 v176, v177, v176
	v_add_f16_e32 v113, v120, v113
	;; [unrolled: 1-line block ×3, first 2 shown]
	ds_write2_b32 v3, v0, v4 offset1:2
	v_pack_b32_f16 v0, v89, v92
	v_pack_b32_f16 v4, v98, v102
	v_add_f16_e32 v196, v202, v196
	v_add_f16_e32 v190, v191, v190
	ds_write2_b32 v3, v0, v4 offset0:4 offset1:6
	v_pack_b32_f16 v0, v108, v113
	v_pack_b32_f16 v4, v176, v174
	ds_write2_b32 v3, v0, v4 offset0:8 offset1:10
	v_pack_b32_f16 v0, v190, v188
	v_pack_b32_f16 v4, v196, v189
	s_mov_b32 s0, 0x5040100
	ds_write2_b32 v3, v0, v4 offset0:12 offset1:14
	v_pack_b32_f16 v0, v182, v175
	v_perm_b32 v4, v9, v8, s0
	ds_write2_b32 v3, v0, v4 offset0:16 offset1:18
	v_perm_b32 v0, v79, v72, s0
	v_perm_b32 v4, v65, v11, s0
	ds_write2_b32 v3, v0, v4 offset0:20 offset1:22
	v_pack_b32_f16 v0, v2, v1
	ds_write_b32 v3, v0 offset:96
.LBB0_17:
	s_or_b64 exec, exec, s[4:5]
	v_add_u32_e32 v4, 0xc00, v51
	s_waitcnt lgkmcnt(0)
	s_barrier
	v_add_u32_e32 v0, 0x300, v51
	ds_read2_b32 v[6:7], v4 offset0:12 offset1:129
	v_add_u32_e32 v4, 0x600, v51
	ds_read2_b32 v[2:3], v51 offset1:117
	ds_read2_b32 v[0:1], v0 offset0:42 offset1:198
	ds_read2_b32 v[4:5], v4 offset0:123 offset1:240
	ds_read_b32 v10, v51 offset:4056
	s_and_saveexec_b64 s[0:1], s[2:3]
	s_cbranch_execz .LBB0_19
; %bb.18:
	ds_read_b32 v8, v51 offset:1404
	ds_read_b32 v72, v51 offset:2964
	;; [unrolled: 1-line block ×3, first 2 shown]
	s_waitcnt lgkmcnt(2)
	v_lshrrev_b32_e32 v9, 16, v8
	s_waitcnt lgkmcnt(1)
	v_lshrrev_b32_e32 v79, 16, v72
	;; [unrolled: 2-line block ×3, first 2 shown]
.LBB0_19:
	s_or_b64 exec, exec, s[0:1]
	s_waitcnt lgkmcnt(2)
	v_lshrrev_b32_e32 v38, 16, v1
	v_mul_f16_sdwa v46, v25, v38 dst_sel:DWORD dst_unused:UNUSED_PAD src0_sel:WORD_1 src1_sel:DWORD
	v_lshrrev_b32_e32 v39, 16, v6
	v_fma_f16 v46, v25, v1, v46
	v_mul_f16_sdwa v1, v25, v1 dst_sel:DWORD dst_unused:UNUSED_PAD src0_sel:WORD_1 src1_sel:DWORD
	v_fma_f16 v25, v25, v38, -v1
	v_mul_f16_sdwa v1, v26, v39 dst_sel:DWORD dst_unused:UNUSED_PAD src0_sel:WORD_1 src1_sel:DWORD
	s_waitcnt lgkmcnt(1)
	v_lshrrev_b32_e32 v41, 16, v4
	v_fma_f16 v38, v26, v6, v1
	v_mul_f16_sdwa v1, v26, v6 dst_sel:DWORD dst_unused:UNUSED_PAD src0_sel:WORD_1 src1_sel:DWORD
	v_fma_f16 v26, v26, v39, -v1
	v_mul_f16_sdwa v1, v23, v41 dst_sel:DWORD dst_unused:UNUSED_PAD src0_sel:WORD_1 src1_sel:DWORD
	v_lshrrev_b32_e32 v42, 16, v7
	v_fma_f16 v39, v23, v4, v1
	v_mul_f16_sdwa v1, v23, v4 dst_sel:DWORD dst_unused:UNUSED_PAD src0_sel:WORD_1 src1_sel:DWORD
	v_fma_f16 v23, v23, v41, -v1
	v_mul_f16_sdwa v1, v24, v42 dst_sel:DWORD dst_unused:UNUSED_PAD src0_sel:WORD_1 src1_sel:DWORD
	;; [unrolled: 5-line block ×3, first 2 shown]
	s_waitcnt lgkmcnt(0)
	v_lshrrev_b32_e32 v45, 16, v10
	v_fma_f16 v24, v21, v5, v1
	v_mul_f16_sdwa v1, v21, v5 dst_sel:DWORD dst_unused:UNUSED_PAD src0_sel:WORD_1 src1_sel:DWORD
	v_fma_f16 v21, v21, v44, -v1
	v_mul_f16_sdwa v1, v22, v45 dst_sel:DWORD dst_unused:UNUSED_PAD src0_sel:WORD_1 src1_sel:DWORD
	v_mul_f16_sdwa v4, v27, v72 dst_sel:DWORD dst_unused:UNUSED_PAD src0_sel:WORD_1 src1_sel:DWORD
	v_fma_f16 v42, v22, v10, v1
	v_mul_f16_sdwa v1, v22, v10 dst_sel:DWORD dst_unused:UNUSED_PAD src0_sel:WORD_1 src1_sel:DWORD
	v_fma_f16 v5, v27, v79, -v4
	v_mul_f16_sdwa v4, v28, v65 dst_sel:DWORD dst_unused:UNUSED_PAD src0_sel:WORD_1 src1_sel:DWORD
	v_fma_f16 v10, v22, v45, -v1
	v_mul_f16_sdwa v1, v27, v79 dst_sel:DWORD dst_unused:UNUSED_PAD src0_sel:WORD_1 src1_sel:DWORD
	v_fma_f16 v4, v28, v11, v4
	v_mul_f16_sdwa v6, v28, v11 dst_sel:DWORD dst_unused:UNUSED_PAD src0_sel:WORD_1 src1_sel:DWORD
	v_add_f16_e32 v11, v2, v46
	v_fma_f16 v1, v27, v72, v1
	v_add_f16_e32 v27, v11, v38
	v_add_f16_e32 v11, v46, v38
	v_lshrrev_b32_e32 v37, 16, v2
	v_fma_f16 v2, v11, -0.5, v2
	v_sub_f16_e32 v11, v25, v26
	s_mov_b32 s0, 0xbaee
	s_movk_i32 s1, 0x3aee
	v_fma_f16 v6, v28, v65, -v6
	v_fma_f16 v28, v11, s0, v2
	v_fma_f16 v2, v11, s1, v2
	v_add_f16_e32 v11, v37, v25
	v_add_f16_e32 v44, v11, v26
	;; [unrolled: 1-line block ×3, first 2 shown]
	v_fma_f16 v11, v11, -0.5, v37
	v_sub_f16_e32 v22, v46, v38
	v_fma_f16 v25, v22, s1, v11
	v_fma_f16 v26, v22, s0, v11
	v_add_f16_e32 v11, v3, v39
	v_add_f16_e32 v37, v11, v41
	;; [unrolled: 1-line block ×3, first 2 shown]
	v_lshrrev_b32_e32 v40, 16, v3
	v_fma_f16 v3, v11, -0.5, v3
	v_sub_f16_e32 v11, v23, v7
	v_fma_f16 v38, v11, s0, v3
	v_fma_f16 v3, v11, s1, v3
	v_add_f16_e32 v11, v40, v23
	v_add_f16_e32 v45, v11, v7
	;; [unrolled: 1-line block ×3, first 2 shown]
	v_fma_f16 v7, v7, -0.5, v40
	v_sub_f16_e32 v11, v39, v41
	v_fma_f16 v23, v11, s1, v7
	v_fma_f16 v7, v11, s0, v7
	v_add_f16_e32 v11, v0, v24
	v_add_f16_e32 v39, v11, v42
	;; [unrolled: 1-line block ×3, first 2 shown]
	v_lshrrev_b32_e32 v43, 16, v0
	v_fma_f16 v0, v11, -0.5, v0
	v_sub_f16_e32 v11, v21, v10
	v_fma_f16 v40, v11, s0, v0
	v_fma_f16 v0, v11, s1, v0
	v_add_f16_e32 v11, v43, v21
	v_add_f16_e32 v41, v11, v10
	;; [unrolled: 1-line block ×3, first 2 shown]
	v_fma_f16 v10, v10, -0.5, v43
	v_sub_f16_e32 v11, v24, v42
	v_fma_f16 v24, v11, s1, v10
	v_fma_f16 v42, v11, s0, v10
	v_add_f16_e32 v10, v1, v4
	v_fma_f16 v11, v10, -0.5, v8
	v_sub_f16_e32 v21, v5, v6
	v_pack_b32_f16 v2, v2, v26
	v_fma_f16 v10, v21, s0, v11
	v_fma_f16 v11, v21, s1, v11
	v_add_f16_e32 v21, v5, v6
	s_barrier
	v_pack_b32_f16 v27, v27, v44
	v_pack_b32_f16 v25, v28, v25
	ds_write_b32 v68, v2 offset:208
	v_pack_b32_f16 v2, v37, v45
	v_pack_b32_f16 v23, v38, v23
	v_fma_f16 v22, v21, -0.5, v9
	v_sub_f16_e32 v43, v1, v4
	ds_write2_b32 v68, v27, v25 offset1:26
	ds_write2_b32 v69, v2, v23 offset1:26
	v_pack_b32_f16 v2, v3, v7
	v_fma_f16 v21, v43, s1, v22
	v_fma_f16 v22, v43, s0, v22
	ds_write_b32 v69, v2 offset:208
	v_pack_b32_f16 v2, v39, v41
	v_pack_b32_f16 v3, v40, v24
	;; [unrolled: 1-line block ×3, first 2 shown]
	ds_write2_b32 v70, v2, v3 offset1:26
	ds_write_b32 v70, v0 offset:208
	s_and_saveexec_b64 s[0:1], s[2:3]
	s_cbranch_execz .LBB0_21
; %bb.20:
	v_add_f16_e32 v0, v5, v9
	v_add_f16_e32 v1, v1, v8
	s_movk_i32 s4, 0x4e
	v_add_f16_e32 v0, v6, v0
	v_add_f16_e32 v1, v1, v4
	v_mad_legacy_u16 v2, v66, s4, v67
	s_mov_b32 s4, 0x5040100
	v_lshlrev_b32_e32 v2, 2, v2
	v_pack_b32_f16 v0, v1, v0
	v_perm_b32 v1, v21, v10, s4
	ds_write2_b32 v2, v0, v1 offset1:26
	v_perm_b32 v0, v22, v11, s4
	ds_write_b32 v2, v0 offset:208
.LBB0_21:
	s_or_b64 exec, exec, s[0:1]
	v_add_u32_e32 v2, 0x200, v51
	s_waitcnt lgkmcnt(0)
	s_barrier
	ds_read2_b32 v[2:3], v2 offset0:106 offset1:223
	v_add_u32_e32 v8, 0x600, v51
	ds_read2_b32 v[4:5], v8 offset0:84 offset1:201
	v_add_u32_e32 v6, 0xa00, v51
	;; [unrolled: 2-line block ×3, first 2 shown]
	s_waitcnt lgkmcnt(2)
	v_lshrrev_b32_e32 v25, 16, v2
	ds_read2_b32 v[23:24], v9 offset0:40 offset1:157
	v_mul_f16_sdwa v42, v12, v25 dst_sel:DWORD dst_unused:UNUSED_PAD src0_sel:WORD_1 src1_sel:DWORD
	s_waitcnt lgkmcnt(2)
	v_lshrrev_b32_e32 v26, 16, v4
	v_fma_f16 v42, v12, v2, v42
	v_mul_f16_sdwa v2, v12, v2 dst_sel:DWORD dst_unused:UNUSED_PAD src0_sel:WORD_1 src1_sel:DWORD
	v_fma_f16 v2, v12, v25, -v2
	v_mul_f16_sdwa v12, v13, v26 dst_sel:DWORD dst_unused:UNUSED_PAD src0_sel:WORD_1 src1_sel:DWORD
	s_waitcnt lgkmcnt(1)
	v_lshrrev_b32_e32 v27, 16, v6
	v_fma_f16 v12, v13, v4, v12
	v_mul_f16_sdwa v4, v13, v4 dst_sel:DWORD dst_unused:UNUSED_PAD src0_sel:WORD_1 src1_sel:DWORD
	v_fma_f16 v4, v13, v26, -v4
	;; [unrolled: 6-line block ×3, first 2 shown]
	v_mul_f16_sdwa v14, v15, v28 dst_sel:DWORD dst_unused:UNUSED_PAD src0_sel:WORD_1 src1_sel:DWORD
	v_lshrrev_b32_e32 v38, 16, v3
	v_fma_f16 v14, v15, v23, v14
	v_mul_f16_sdwa v23, v15, v23 dst_sel:DWORD dst_unused:UNUSED_PAD src0_sel:WORD_1 src1_sel:DWORD
	ds_read2_b32 v[0:1], v51 offset1:117
	v_fma_f16 v15, v15, v28, -v23
	v_mul_f16_sdwa v23, v16, v38 dst_sel:DWORD dst_unused:UNUSED_PAD src0_sel:WORD_1 src1_sel:DWORD
	v_lshrrev_b32_e32 v39, 16, v5
	v_fma_f16 v23, v16, v3, v23
	v_mul_f16_sdwa v3, v16, v3 dst_sel:DWORD dst_unused:UNUSED_PAD src0_sel:WORD_1 src1_sel:DWORD
	v_fma_f16 v3, v16, v38, -v3
	v_mul_f16_sdwa v16, v17, v39 dst_sel:DWORD dst_unused:UNUSED_PAD src0_sel:WORD_1 src1_sel:DWORD
	v_lshrrev_b32_e32 v40, 16, v7
	v_fma_f16 v16, v17, v5, v16
	v_mul_f16_sdwa v5, v17, v5 dst_sel:DWORD dst_unused:UNUSED_PAD src0_sel:WORD_1 src1_sel:DWORD
	v_fma_f16 v5, v17, v39, -v5
	v_mul_f16_sdwa v17, v18, v40 dst_sel:DWORD dst_unused:UNUSED_PAD src0_sel:WORD_1 src1_sel:DWORD
	v_add_f16_e32 v25, v12, v13
	v_lshrrev_b32_e32 v41, 16, v24
	v_fma_f16 v17, v18, v7, v17
	v_mul_f16_sdwa v7, v18, v7 dst_sel:DWORD dst_unused:UNUSED_PAD src0_sel:WORD_1 src1_sel:DWORD
	s_waitcnt lgkmcnt(0)
	v_fma_f16 v25, v25, -0.5, v0
	v_sub_f16_e32 v26, v2, v15
	s_mov_b32 s0, 0xbb9c
	s_movk_i32 s5, 0x3b9c
	v_fma_f16 v7, v18, v40, -v7
	v_mul_f16_sdwa v18, v19, v41 dst_sel:DWORD dst_unused:UNUSED_PAD src0_sel:WORD_1 src1_sel:DWORD
	v_fma_f16 v27, v26, s0, v25
	v_sub_f16_e32 v28, v4, v6
	s_mov_b32 s1, 0xb8b4
	v_sub_f16_e32 v38, v42, v12
	v_sub_f16_e32 v39, v14, v13
	v_fma_f16 v25, v26, s5, v25
	s_movk_i32 s12, 0x38b4
	v_fma_f16 v18, v19, v24, v18
	v_mul_f16_sdwa v24, v19, v24 dst_sel:DWORD dst_unused:UNUSED_PAD src0_sel:WORD_1 src1_sel:DWORD
	v_fma_f16 v27, v28, s1, v27
	v_add_f16_e32 v38, v38, v39
	s_movk_i32 s4, 0x34f2
	v_fma_f16 v25, v28, s12, v25
	v_fma_f16 v19, v19, v41, -v24
	v_add_f16_e32 v24, v0, v42
	v_fma_f16 v27, v38, s4, v27
	v_fma_f16 v25, v38, s4, v25
	v_add_f16_e32 v38, v42, v14
	v_lshrrev_b32_e32 v9, 16, v0
	v_add_f16_e32 v24, v24, v12
	v_fma_f16 v0, v38, -0.5, v0
	v_add_f16_e32 v24, v24, v13
	v_fma_f16 v38, v28, s5, v0
	v_sub_f16_e32 v39, v12, v42
	v_sub_f16_e32 v40, v13, v14
	v_fma_f16 v0, v28, s0, v0
	v_add_f16_e32 v28, v4, v6
	v_add_f16_e32 v24, v24, v14
	v_fma_f16 v38, v26, s1, v38
	v_add_f16_e32 v39, v39, v40
	v_fma_f16 v0, v26, s12, v0
	v_fma_f16 v28, v28, -0.5, v9
	v_sub_f16_e32 v14, v42, v14
	v_fma_f16 v38, v39, s4, v38
	v_fma_f16 v0, v39, s4, v0
	;; [unrolled: 1-line block ×3, first 2 shown]
	v_sub_f16_e32 v12, v12, v13
	v_fma_f16 v13, v12, s12, v39
	v_sub_f16_e32 v39, v2, v4
	v_sub_f16_e32 v40, v15, v6
	v_fma_f16 v28, v14, s0, v28
	v_add_f16_e32 v39, v39, v40
	v_fma_f16 v28, v12, s1, v28
	v_add_f16_e32 v26, v9, v2
	v_fma_f16 v13, v39, s4, v13
	v_fma_f16 v28, v39, s4, v28
	v_add_f16_e32 v39, v2, v15
	v_add_f16_e32 v26, v26, v4
	v_fma_f16 v9, v39, -0.5, v9
	v_add_f16_e32 v26, v26, v6
	v_fma_f16 v39, v12, s0, v9
	v_sub_f16_e32 v2, v4, v2
	v_sub_f16_e32 v4, v6, v15
	v_fma_f16 v6, v12, s5, v9
	v_add_f16_e32 v9, v16, v17
	v_fma_f16 v39, v14, s12, v39
	v_add_f16_e32 v2, v2, v4
	v_fma_f16 v9, v9, -0.5, v1
	v_sub_f16_e32 v12, v3, v19
	v_add_f16_e32 v26, v26, v15
	v_fma_f16 v4, v2, s4, v39
	v_fma_f16 v6, v14, s1, v6
	;; [unrolled: 1-line block ×3, first 2 shown]
	v_sub_f16_e32 v15, v5, v7
	v_sub_f16_e32 v39, v23, v16
	;; [unrolled: 1-line block ×3, first 2 shown]
	v_fma_f16 v9, v12, s5, v9
	v_fma_f16 v14, v15, s1, v14
	v_add_f16_e32 v39, v39, v40
	v_fma_f16 v9, v15, s12, v9
	v_fma_f16 v14, v39, s4, v14
	;; [unrolled: 1-line block ×3, first 2 shown]
	v_add_f16_e32 v39, v23, v18
	v_lshrrev_b32_e32 v37, 16, v1
	v_fma_f16 v2, v2, s4, v6
	v_add_f16_e32 v6, v1, v23
	v_fma_f16 v1, v39, -0.5, v1
	v_fma_f16 v39, v15, s5, v1
	v_fma_f16 v1, v15, s0, v1
	;; [unrolled: 1-line block ×4, first 2 shown]
	v_add_f16_e32 v12, v37, v3
	v_add_f16_e32 v12, v12, v5
	;; [unrolled: 1-line block ×8, first 2 shown]
	v_sub_f16_e32 v40, v16, v23
	v_sub_f16_e32 v41, v17, v18
	v_fma_f16 v12, v12, -0.5, v37
	v_sub_f16_e32 v18, v23, v18
	v_add_f16_e32 v40, v40, v41
	v_fma_f16 v23, v18, s5, v12
	v_sub_f16_e32 v16, v16, v17
	v_fma_f16 v39, v40, s4, v39
	v_fma_f16 v1, v40, s4, v1
	;; [unrolled: 1-line block ×3, first 2 shown]
	v_sub_f16_e32 v23, v3, v5
	v_sub_f16_e32 v40, v19, v7
	v_fma_f16 v12, v18, s0, v12
	v_add_f16_e32 v23, v23, v40
	v_fma_f16 v12, v16, s1, v12
	v_fma_f16 v17, v23, s4, v17
	v_fma_f16 v12, v23, s4, v12
	v_add_f16_e32 v23, v3, v19
	v_fma_f16 v23, v23, -0.5, v37
	v_fma_f16 v37, v16, s0, v23
	v_sub_f16_e32 v3, v5, v3
	v_sub_f16_e32 v5, v7, v19
	v_fma_f16 v7, v16, s5, v23
	v_pack_b32_f16 v4, v38, v4
	v_pack_b32_f16 v0, v0, v2
	v_fma_f16 v37, v18, s12, v37
	v_add_f16_e32 v3, v3, v5
	v_fma_f16 v7, v18, s1, v7
	s_barrier
	ds_write2_b32 v73, v4, v0 offset0:156 offset1:234
	v_pack_b32_f16 v0, v25, v28
	v_fma_f16 v5, v3, s4, v37
	v_fma_f16 v3, v3, s4, v7
	v_pack_b32_f16 v7, v24, v26
	v_pack_b32_f16 v13, v27, v13
	ds_write_b32 v73, v0 offset:1248
	v_pack_b32_f16 v0, v6, v15
	v_pack_b32_f16 v2, v14, v17
	ds_write2_b32 v73, v7, v13 offset1:78
	ds_write2_b32 v74, v0, v2 offset1:78
	v_pack_b32_f16 v0, v39, v5
	v_pack_b32_f16 v1, v1, v3
	ds_write2_b32 v74, v0, v1 offset0:156 offset1:234
	v_pack_b32_f16 v0, v9, v12
	ds_write_b32 v74, v0 offset:1248
	v_add_u32_e32 v0, 0x300, v51
	v_add_u32_e32 v4, 0xc00, v51
	s_waitcnt lgkmcnt(0)
	s_barrier
	ds_read2_b32 v[2:3], v51 offset1:117
	ds_read2_b32 v[0:1], v0 offset0:42 offset1:198
	ds_read2_b32 v[6:7], v4 offset0:12 offset1:129
	;; [unrolled: 1-line block ×3, first 2 shown]
	ds_read_b32 v13, v51 offset:4056
	s_and_saveexec_b64 s[0:1], s[2:3]
	s_cbranch_execz .LBB0_23
; %bb.22:
	ds_read_b32 v9, v51 offset:1404
	ds_read_b32 v10, v51 offset:2964
	;; [unrolled: 1-line block ×3, first 2 shown]
	s_waitcnt lgkmcnt(2)
	v_lshrrev_b32_e32 v12, 16, v9
	s_waitcnt lgkmcnt(1)
	v_lshrrev_b32_e32 v21, 16, v10
	;; [unrolled: 2-line block ×3, first 2 shown]
.LBB0_23:
	s_or_b64 exec, exec, s[0:1]
	s_waitcnt lgkmcnt(3)
	v_lshrrev_b32_e32 v15, 16, v1
	v_mul_f16_sdwa v26, v31, v15 dst_sel:DWORD dst_unused:UNUSED_PAD src0_sel:WORD_1 src1_sel:DWORD
	s_waitcnt lgkmcnt(2)
	v_lshrrev_b32_e32 v16, 16, v6
	v_fma_f16 v26, v31, v1, v26
	v_mul_f16_sdwa v1, v31, v1 dst_sel:DWORD dst_unused:UNUSED_PAD src0_sel:WORD_1 src1_sel:DWORD
	v_fma_f16 v1, v31, v15, -v1
	v_mul_f16_sdwa v15, v32, v16 dst_sel:DWORD dst_unused:UNUSED_PAD src0_sel:WORD_1 src1_sel:DWORD
	s_waitcnt lgkmcnt(1)
	v_lshrrev_b32_e32 v18, 16, v4
	v_fma_f16 v15, v32, v6, v15
	v_mul_f16_sdwa v6, v32, v6 dst_sel:DWORD dst_unused:UNUSED_PAD src0_sel:WORD_1 src1_sel:DWORD
	v_fma_f16 v6, v32, v16, -v6
	v_mul_f16_sdwa v16, v33, v18 dst_sel:DWORD dst_unused:UNUSED_PAD src0_sel:WORD_1 src1_sel:DWORD
	v_lshrrev_b32_e32 v19, 16, v7
	v_fma_f16 v16, v33, v4, v16
	v_mul_f16_sdwa v4, v33, v4 dst_sel:DWORD dst_unused:UNUSED_PAD src0_sel:WORD_1 src1_sel:DWORD
	v_fma_f16 v4, v33, v18, -v4
	v_mul_f16_sdwa v18, v34, v19 dst_sel:DWORD dst_unused:UNUSED_PAD src0_sel:WORD_1 src1_sel:DWORD
	;; [unrolled: 5-line block ×3, first 2 shown]
	s_waitcnt lgkmcnt(0)
	v_lshrrev_b32_e32 v25, 16, v13
	v_fma_f16 v19, v35, v5, v19
	v_mul_f16_sdwa v5, v35, v5 dst_sel:DWORD dst_unused:UNUSED_PAD src0_sel:WORD_1 src1_sel:DWORD
	v_fma_f16 v5, v35, v24, -v5
	v_mul_f16_sdwa v24, v36, v25 dst_sel:DWORD dst_unused:UNUSED_PAD src0_sel:WORD_1 src1_sel:DWORD
	v_fma_f16 v24, v36, v13, v24
	v_mul_f16_sdwa v13, v36, v13 dst_sel:DWORD dst_unused:UNUSED_PAD src0_sel:WORD_1 src1_sel:DWORD
	v_add_f16_e32 v27, v26, v15
	v_lshrrev_b32_e32 v14, 16, v2
	v_fma_f16 v13, v36, v25, -v13
	v_add_f16_e32 v25, v2, v26
	v_fma_f16 v2, v27, -0.5, v2
	v_sub_f16_e32 v27, v1, v6
	s_mov_b32 s4, 0xbaee
	s_movk_i32 s5, 0x3aee
	v_fma_f16 v28, v27, s4, v2
	v_fma_f16 v2, v27, s5, v2
	v_add_f16_e32 v27, v14, v1
	v_add_f16_e32 v1, v1, v6
	;; [unrolled: 1-line block ×4, first 2 shown]
	v_fma_f16 v1, v1, -0.5, v14
	v_sub_f16_e32 v6, v26, v15
	v_add_f16_e32 v15, v16, v18
	v_lshrrev_b32_e32 v17, 16, v3
	v_fma_f16 v14, v6, s5, v1
	v_fma_f16 v1, v6, s4, v1
	v_add_f16_e32 v6, v3, v16
	v_fma_f16 v3, v15, -0.5, v3
	v_sub_f16_e32 v15, v4, v7
	v_fma_f16 v26, v15, s4, v3
	v_fma_f16 v3, v15, s5, v3
	v_add_f16_e32 v15, v17, v4
	v_add_f16_e32 v4, v4, v7
	;; [unrolled: 1-line block ×3, first 2 shown]
	v_fma_f16 v4, v4, -0.5, v17
	v_sub_f16_e32 v7, v16, v18
	v_add_f16_e32 v17, v19, v24
	v_lshrrev_b32_e32 v23, 16, v0
	v_fma_f16 v16, v7, s5, v4
	v_fma_f16 v4, v7, s4, v4
	v_add_f16_e32 v7, v0, v19
	v_fma_f16 v0, v17, -0.5, v0
	v_sub_f16_e32 v17, v5, v13
	v_add_f16_e32 v6, v6, v18
	v_fma_f16 v18, v17, s4, v0
	v_fma_f16 v0, v17, s5, v0
	v_add_f16_e32 v17, v23, v5
	v_add_f16_e32 v5, v5, v13
	;; [unrolled: 1-line block ×3, first 2 shown]
	v_fma_f16 v5, v5, -0.5, v23
	v_sub_f16_e32 v13, v19, v24
	v_pack_b32_f16 v1, v2, v1
	v_add_f16_e32 v7, v7, v24
	v_fma_f16 v19, v13, s5, v5
	v_fma_f16 v5, v13, s4, v5
	v_pack_b32_f16 v13, v25, v27
	v_pack_b32_f16 v14, v28, v14
	ds_write_b32 v51, v1 offset:3120
	v_pack_b32_f16 v1, v6, v15
	v_pack_b32_f16 v2, v3, v4
	ds_write_b32 v51, v14 offset:1560
	ds_write2_b32 v51, v13, v1 offset1:117
	ds_write_b32 v51, v2 offset:3588
	v_pack_b32_f16 v2, v7, v17
	v_pack_b32_f16 v1, v26, v16
	ds_write_b32 v51, v2 offset:936
	v_pack_b32_f16 v2, v18, v19
	v_pack_b32_f16 v0, v0, v5
	ds_write2_b32 v8, v1, v2 offset0:123 offset1:240
	ds_write_b32 v51, v0 offset:4056
	s_and_saveexec_b64 s[0:1], s[2:3]
	s_cbranch_execz .LBB0_25
; %bb.24:
	v_mul_f16_sdwa v0, v30, v11 dst_sel:DWORD dst_unused:UNUSED_PAD src0_sel:WORD_1 src1_sel:DWORD
	v_mul_f16_sdwa v1, v29, v10 dst_sel:DWORD dst_unused:UNUSED_PAD src0_sel:WORD_1 src1_sel:DWORD
	v_mul_f16_sdwa v3, v29, v21 dst_sel:DWORD dst_unused:UNUSED_PAD src0_sel:WORD_1 src1_sel:DWORD
	v_mul_f16_sdwa v5, v30, v22 dst_sel:DWORD dst_unused:UNUSED_PAD src0_sel:WORD_1 src1_sel:DWORD
	v_fma_f16 v0, v30, v22, -v0
	v_fma_f16 v1, v29, v21, -v1
	v_fma_f16 v3, v29, v10, v3
	v_fma_f16 v5, v30, v11, v5
	v_add_f16_e32 v2, v1, v12
	v_add_f16_e32 v4, v3, v9
	;; [unrolled: 1-line block ×3, first 2 shown]
	v_sub_f16_e32 v7, v3, v5
	v_add_f16_e32 v3, v3, v5
	v_add_f16_e32 v2, v0, v2
	v_fma_f16 v6, v6, -0.5, v12
	v_fma_f16 v3, v3, -0.5, v9
	v_sub_f16_e32 v0, v1, v0
	v_fma_f16 v8, v7, s4, v6
	v_fma_f16 v6, v7, s5, v6
	;; [unrolled: 1-line block ×4, first 2 shown]
	v_add_f16_e32 v4, v4, v5
	v_pack_b32_f16 v0, v0, v6
	v_pack_b32_f16 v2, v4, v2
	ds_write_b32 v51, v0 offset:2964
	v_pack_b32_f16 v0, v1, v8
	ds_write_b32 v51, v2 offset:1404
	ds_write_b32 v51, v0 offset:4524
.LBB0_25:
	s_or_b64 exec, exec, s[0:1]
	s_waitcnt lgkmcnt(0)
	s_barrier
	ds_read2_b32 v[2:3], v51 offset1:117
	s_mov_b32 s2, 0x1c01c01c
	s_mov_b32 s3, 0x3f4c01c0
	v_mad_u64_u32 v[4:5], s[0:1], s10, v20, 0
	s_waitcnt lgkmcnt(0)
	v_lshrrev_b32_e32 v7, 16, v2
	v_mul_f16_sdwa v0, v60, v7 dst_sel:DWORD dst_unused:UNUSED_PAD src0_sel:WORD_1 src1_sel:DWORD
	v_fma_f16 v0, v60, v2, v0
	v_cvt_f32_f16_e32 v0, v0
	s_movk_i32 s4, 0x1ff
	v_mad_u64_u32 v[5:6], s[0:1], s11, v20, v[5:6]
	v_cvt_f64_f32_e32 v[0:1], v0
	s_movk_i32 s5, 0xffe
	v_mul_f16_sdwa v2, v60, v2 dst_sel:DWORD dst_unused:UNUSED_PAD src0_sel:WORD_1 src1_sel:DWORD
	v_fma_f16 v2, v60, v7, -v2
	v_mul_f64 v[0:1], v[0:1], s[2:3]
	v_cvt_f32_f16_e32 v7, v2
	v_mov_b32_e32 v2, 0x7c00
	s_movk_i32 s10, 0x40f
	s_mov_b32 s11, 0x8000
	v_lshlrev_b64 v[4:5], 2, v[4:5]
	v_and_or_b32 v0, v1, s4, v0
	v_cmp_ne_u32_e32 vcc, 0, v0
	v_lshrrev_b32_e32 v6, 8, v1
	v_bfe_u32 v8, v1, 20, 11
	v_cndmask_b32_e64 v0, 0, 1, vcc
	v_sub_u32_e32 v9, 0x3f1, v8
	v_and_or_b32 v0, v6, s5, v0
	v_or_b32_e32 v6, 0x1000, v0
	v_med3_i32 v9, v9, 0, 13
	v_lshrrev_b32_e32 v10, v9, v6
	v_lshlrev_b32_e32 v9, v9, v10
	v_cmp_ne_u32_e32 vcc, v9, v6
	v_cndmask_b32_e64 v6, 0, 1, vcc
	v_add_u32_e32 v8, 0xfffffc10, v8
	v_or_b32_e32 v6, v10, v6
	v_lshl_or_b32 v9, v8, 12, v0
	v_cmp_gt_i32_e32 vcc, 1, v8
	v_cndmask_b32_e32 v6, v9, v6, vcc
	v_and_b32_e32 v9, 7, v6
	v_cmp_lt_i32_e32 vcc, 5, v9
	v_cmp_eq_u32_e64 s[0:1], 3, v9
	v_lshrrev_b32_e32 v6, 2, v6
	s_or_b64 vcc, s[0:1], vcc
	v_addc_co_u32_e32 v9, vcc, 0, v6, vcc
	v_cvt_f64_f32_e32 v[6:7], v7
	v_cmp_gt_i32_e32 vcc, 31, v8
	v_cndmask_b32_e32 v9, v2, v9, vcc
	v_cmp_ne_u32_e32 vcc, 0, v0
	v_mul_f64 v[6:7], v[6:7], s[2:3]
	v_cndmask_b32_e64 v0, 0, 1, vcc
	v_lshl_or_b32 v0, v0, 9, v2
	v_cmp_eq_u32_e32 vcc, s10, v8
	v_cndmask_b32_e32 v0, v9, v0, vcc
	v_lshrrev_b32_e32 v1, 16, v1
	v_and_or_b32 v10, v1, s11, v0
	v_and_b32_e32 v10, 0xffff, v10
	v_and_or_b32 v0, v7, s4, v6
	v_cmp_ne_u32_e32 vcc, 0, v0
	v_cndmask_b32_e64 v0, 0, 1, vcc
	v_lshrrev_b32_e32 v1, 8, v7
	v_bfe_u32 v6, v7, 20, 11
	v_and_or_b32 v0, v1, s5, v0
	v_sub_u32_e32 v8, 0x3f1, v6
	v_or_b32_e32 v1, 0x1000, v0
	v_med3_i32 v8, v8, 0, 13
	v_lshrrev_b32_e32 v9, v8, v1
	v_lshlrev_b32_e32 v8, v8, v9
	v_cmp_ne_u32_e32 vcc, v8, v1
	v_cndmask_b32_e64 v1, 0, 1, vcc
	v_add_u32_e32 v6, 0xfffffc10, v6
	v_or_b32_e32 v1, v9, v1
	v_lshl_or_b32 v8, v6, 12, v0
	v_cmp_gt_i32_e32 vcc, 1, v6
	v_cndmask_b32_e32 v1, v8, v1, vcc
	v_and_b32_e32 v8, 7, v1
	v_cmp_lt_i32_e32 vcc, 5, v8
	v_cmp_eq_u32_e64 s[0:1], 3, v8
	v_lshrrev_b32_e32 v1, 2, v1
	s_or_b64 vcc, s[0:1], vcc
	v_addc_co_u32_e32 v1, vcc, 0, v1, vcc
	v_cmp_gt_i32_e32 vcc, 31, v6
	v_cndmask_b32_e32 v1, v2, v1, vcc
	v_cmp_ne_u32_e32 vcc, 0, v0
	v_cndmask_b32_e64 v0, 0, 1, vcc
	v_lshl_or_b32 v0, v0, 9, v2
	v_cmp_eq_u32_e32 vcc, s10, v6
	v_cndmask_b32_e32 v11, v1, v0, vcc
	v_add_u32_e32 v0, 0x600, v51
	v_mad_u64_u32 v[8:9], s[0:1], s8, v59, 0
	ds_read2_b32 v[0:1], v0 offset0:84 offset1:201
	v_lshrrev_b32_e32 v12, 16, v7
	v_mov_b32_e32 v6, v9
	v_mad_u64_u32 v[6:7], s[0:1], s9, v59, v[6:7]
	s_waitcnt lgkmcnt(0)
	v_lshrrev_b32_e32 v13, 16, v1
	v_mul_f16_sdwa v7, v58, v13 dst_sel:DWORD dst_unused:UNUSED_PAD src0_sel:WORD_1 src1_sel:DWORD
	v_fma_f16 v7, v58, v1, v7
	v_cvt_f32_f16_e32 v7, v7
	v_mov_b32_e32 v9, v6
	v_and_or_b32 v11, v12, s11, v11
	v_lshl_or_b32 v10, v11, 16, v10
	v_cvt_f64_f32_e32 v[6:7], v7
	v_mov_b32_e32 v11, s7
	v_add_co_u32_e32 v12, vcc, s6, v4
	v_mul_f64 v[6:7], v[6:7], s[2:3]
	v_addc_co_u32_e32 v11, vcc, v11, v5, vcc
	v_lshlrev_b64 v[4:5], 2, v[8:9]
	v_mul_f16_sdwa v1, v58, v1 dst_sel:DWORD dst_unused:UNUSED_PAD src0_sel:WORD_1 src1_sel:DWORD
	v_add_co_u32_e32 v4, vcc, v12, v4
	v_addc_co_u32_e32 v5, vcc, v11, v5, vcc
	v_and_or_b32 v6, v7, s4, v6
	v_cmp_ne_u32_e32 vcc, 0, v6
	v_cndmask_b32_e64 v6, 0, 1, vcc
	v_lshrrev_b32_e32 v8, 8, v7
	v_bfe_u32 v9, v7, 20, 11
	global_store_dword v[4:5], v10, off
	v_and_or_b32 v6, v8, s5, v6
	v_sub_u32_e32 v10, 0x3f1, v9
	v_or_b32_e32 v8, 0x1000, v6
	v_med3_i32 v10, v10, 0, 13
	v_lshrrev_b32_e32 v11, v10, v8
	v_lshlrev_b32_e32 v10, v10, v11
	v_cmp_ne_u32_e32 vcc, v10, v8
	v_fma_f16 v1, v58, v13, -v1
	v_cndmask_b32_e64 v8, 0, 1, vcc
	v_add_u32_e32 v10, 0xfffffc10, v9
	v_cvt_f32_f16_e32 v1, v1
	v_or_b32_e32 v8, v11, v8
	v_lshl_or_b32 v9, v10, 12, v6
	v_cmp_gt_i32_e32 vcc, 1, v10
	v_cndmask_b32_e32 v8, v9, v8, vcc
	v_and_b32_e32 v9, 7, v8
	v_cmp_lt_i32_e32 vcc, 5, v9
	v_cmp_eq_u32_e64 s[0:1], 3, v9
	v_lshrrev_b32_e32 v11, 2, v8
	v_cvt_f64_f32_e32 v[8:9], v1
	s_or_b64 vcc, s[0:1], vcc
	v_addc_co_u32_e32 v1, vcc, 0, v11, vcc
	v_mul_f64 v[8:9], v[8:9], s[2:3]
	v_cmp_gt_i32_e32 vcc, 31, v10
	v_cndmask_b32_e32 v1, v2, v1, vcc
	v_cmp_ne_u32_e32 vcc, 0, v6
	v_cndmask_b32_e64 v6, 0, 1, vcc
	v_lshl_or_b32 v6, v6, 9, v2
	v_cmp_eq_u32_e32 vcc, s10, v10
	v_cndmask_b32_e32 v1, v1, v6, vcc
	v_lshrrev_b32_e32 v6, 16, v7
	v_and_or_b32 v1, v6, s11, v1
	v_and_or_b32 v6, v9, s4, v8
	v_cmp_ne_u32_e32 vcc, 0, v6
	v_cndmask_b32_e64 v6, 0, 1, vcc
	v_lshrrev_b32_e32 v7, 8, v9
	v_bfe_u32 v8, v9, 20, 11
	v_and_or_b32 v6, v7, s5, v6
	v_sub_u32_e32 v10, 0x3f1, v8
	v_or_b32_e32 v7, 0x1000, v6
	v_med3_i32 v10, v10, 0, 13
	v_lshrrev_b32_e32 v11, v10, v7
	v_lshlrev_b32_e32 v10, v10, v11
	v_cmp_ne_u32_e32 vcc, v10, v7
	v_cndmask_b32_e64 v7, 0, 1, vcc
	v_add_u32_e32 v8, 0xfffffc10, v8
	v_or_b32_e32 v7, v11, v7
	v_lshl_or_b32 v10, v8, 12, v6
	v_cmp_gt_i32_e32 vcc, 1, v8
	v_cndmask_b32_e32 v7, v10, v7, vcc
	v_and_b32_e32 v10, 7, v7
	v_cmp_lt_i32_e32 vcc, 5, v10
	v_cmp_eq_u32_e64 s[0:1], 3, v10
	v_lshrrev_b32_e32 v7, 2, v7
	s_or_b64 vcc, s[0:1], vcc
	v_addc_co_u32_e32 v7, vcc, 0, v7, vcc
	v_cmp_gt_i32_e32 vcc, 31, v8
	v_cndmask_b32_e32 v7, v2, v7, vcc
	v_cmp_ne_u32_e32 vcc, 0, v6
	v_cndmask_b32_e64 v6, 0, 1, vcc
	v_lshl_or_b32 v6, v6, 9, v2
	v_cmp_eq_u32_e32 vcc, s10, v8
	v_lshrrev_b32_e32 v8, 16, v3
	v_cndmask_b32_e32 v6, v7, v6, vcc
	v_lshrrev_b32_e32 v7, 16, v9
	v_mul_f16_sdwa v9, v57, v8 dst_sel:DWORD dst_unused:UNUSED_PAD src0_sel:WORD_1 src1_sel:DWORD
	v_fma_f16 v9, v57, v3, v9
	v_cvt_f32_f16_e32 v9, v9
	v_and_or_b32 v6, v7, s11, v6
	v_and_b32_e32 v1, 0xffff, v1
	v_lshl_or_b32 v1, v6, 16, v1
	v_cvt_f64_f32_e32 v[6:7], v9
	s_mul_i32 s0, s9, 0x924
	s_mul_hi_u32 s6, s8, 0x924
	s_add_i32 s6, s6, s0
	v_mul_f64 v[6:7], v[6:7], s[2:3]
	s_mul_i32 s7, s8, 0x924
	v_mov_b32_e32 v9, s6
	v_add_co_u32_e32 v4, vcc, s7, v4
	v_addc_co_u32_e32 v5, vcc, v5, v9, vcc
	global_store_dword v[4:5], v1, off
	v_and_or_b32 v1, v7, s4, v6
	v_cmp_ne_u32_e32 vcc, 0, v1
	v_cndmask_b32_e64 v1, 0, 1, vcc
	v_lshrrev_b32_e32 v6, 8, v7
	v_bfe_u32 v9, v7, 20, 11
	v_and_or_b32 v1, v6, s5, v1
	v_sub_u32_e32 v10, 0x3f1, v9
	v_or_b32_e32 v6, 0x1000, v1
	v_med3_i32 v10, v10, 0, 13
	v_lshrrev_b32_e32 v11, v10, v6
	v_lshlrev_b32_e32 v10, v10, v11
	v_mul_f16_sdwa v3, v57, v3 dst_sel:DWORD dst_unused:UNUSED_PAD src0_sel:WORD_1 src1_sel:DWORD
	v_cmp_ne_u32_e32 vcc, v10, v6
	v_fma_f16 v3, v57, v8, -v3
	v_cndmask_b32_e64 v6, 0, 1, vcc
	v_add_u32_e32 v10, 0xfffffc10, v9
	v_cvt_f32_f16_e32 v3, v3
	v_or_b32_e32 v6, v11, v6
	v_lshl_or_b32 v9, v10, 12, v1
	v_cmp_gt_i32_e32 vcc, 1, v10
	v_cndmask_b32_e32 v6, v9, v6, vcc
	v_and_b32_e32 v9, 7, v6
	v_cmp_lt_i32_e32 vcc, 5, v9
	v_cmp_eq_u32_e64 s[0:1], 3, v9
	v_cvt_f64_f32_e32 v[8:9], v3
	v_lshrrev_b32_e32 v6, 2, v6
	s_or_b64 vcc, s[0:1], vcc
	v_addc_co_u32_e32 v3, vcc, 0, v6, vcc
	v_mul_f64 v[8:9], v[8:9], s[2:3]
	v_cmp_gt_i32_e32 vcc, 31, v10
	v_cndmask_b32_e32 v3, v2, v3, vcc
	v_cmp_ne_u32_e32 vcc, 0, v1
	v_cndmask_b32_e64 v1, 0, 1, vcc
	v_lshl_or_b32 v1, v1, 9, v2
	v_cmp_eq_u32_e32 vcc, s10, v10
	v_cndmask_b32_e32 v1, v3, v1, vcc
	v_lshrrev_b32_e32 v3, 16, v7
	v_and_or_b32 v1, v3, s11, v1
	v_and_or_b32 v3, v9, s4, v8
	v_cmp_ne_u32_e32 vcc, 0, v3
	v_cndmask_b32_e64 v3, 0, 1, vcc
	v_lshrrev_b32_e32 v6, 8, v9
	v_bfe_u32 v7, v9, 20, 11
	v_and_or_b32 v3, v6, s5, v3
	v_sub_u32_e32 v8, 0x3f1, v7
	v_or_b32_e32 v6, 0x1000, v3
	v_med3_i32 v8, v8, 0, 13
	v_lshrrev_b32_e32 v10, v8, v6
	v_lshlrev_b32_e32 v8, v8, v10
	v_cmp_ne_u32_e32 vcc, v8, v6
	v_cndmask_b32_e64 v6, 0, 1, vcc
	v_add_u32_e32 v8, 0xfffffc10, v7
	v_or_b32_e32 v6, v10, v6
	v_lshl_or_b32 v7, v8, 12, v3
	v_cmp_gt_i32_e32 vcc, 1, v8
	v_cndmask_b32_e32 v6, v7, v6, vcc
	v_and_b32_e32 v7, 7, v6
	v_cmp_lt_i32_e32 vcc, 5, v7
	v_cmp_eq_u32_e64 s[0:1], 3, v7
	v_lshrrev_b32_e32 v6, 2, v6
	s_or_b64 vcc, s[0:1], vcc
	v_addc_co_u32_e32 v6, vcc, 0, v6, vcc
	v_cmp_gt_i32_e32 vcc, 31, v8
	v_cndmask_b32_e32 v10, v2, v6, vcc
	v_add_u32_e32 v6, 0xa00, v51
	ds_read2_b32 v[6:7], v6 offset0:62 offset1:179
	v_cmp_ne_u32_e32 vcc, 0, v3
	v_cndmask_b32_e64 v3, 0, 1, vcc
	v_lshl_or_b32 v3, v3, 9, v2
	v_cmp_eq_u32_e32 vcc, s10, v8
	v_cndmask_b32_e32 v3, v10, v3, vcc
	v_lshrrev_b32_e32 v8, 16, v9
	s_waitcnt lgkmcnt(0)
	v_lshrrev_b32_e32 v10, 16, v6
	v_and_or_b32 v3, v8, s11, v3
	v_mul_f16_sdwa v8, v56, v10 dst_sel:DWORD dst_unused:UNUSED_PAD src0_sel:WORD_1 src1_sel:DWORD
	v_fma_f16 v8, v56, v6, v8
	v_cvt_f32_f16_e32 v8, v8
	s_mul_hi_u32 s1, s8, 0xfffff8b0
	s_mul_i32 s0, s9, 0xfffff8b0
	s_sub_i32 s9, s1, s8
	v_cvt_f64_f32_e32 v[8:9], v8
	v_and_b32_e32 v1, 0xffff, v1
	s_add_i32 s9, s9, s0
	s_mulk_i32 s8, 0xf8b0
	v_mul_f64 v[8:9], v[8:9], s[2:3]
	v_lshl_or_b32 v1, v3, 16, v1
	v_mov_b32_e32 v11, s9
	v_add_co_u32_e32 v3, vcc, s8, v4
	v_addc_co_u32_e32 v4, vcc, v5, v11, vcc
	global_store_dword v[3:4], v1, off
	v_and_or_b32 v1, v9, s4, v8
	v_cmp_ne_u32_e32 vcc, 0, v1
	v_cndmask_b32_e64 v1, 0, 1, vcc
	v_lshrrev_b32_e32 v5, 8, v9
	v_bfe_u32 v8, v9, 20, 11
	v_and_or_b32 v1, v5, s5, v1
	v_sub_u32_e32 v11, 0x3f1, v8
	v_or_b32_e32 v5, 0x1000, v1
	v_med3_i32 v11, v11, 0, 13
	v_lshrrev_b32_e32 v12, v11, v5
	v_mul_f16_sdwa v6, v56, v6 dst_sel:DWORD dst_unused:UNUSED_PAD src0_sel:WORD_1 src1_sel:DWORD
	v_lshlrev_b32_e32 v11, v11, v12
	v_fma_f16 v6, v56, v10, -v6
	v_cmp_ne_u32_e32 vcc, v11, v5
	v_cvt_f32_f16_e32 v6, v6
	v_cndmask_b32_e64 v5, 0, 1, vcc
	v_add_u32_e32 v8, 0xfffffc10, v8
	v_or_b32_e32 v5, v12, v5
	v_lshl_or_b32 v11, v8, 12, v1
	v_cmp_gt_i32_e32 vcc, 1, v8
	v_cndmask_b32_e32 v5, v11, v5, vcc
	v_and_b32_e32 v11, 7, v5
	v_lshrrev_b32_e32 v10, 2, v5
	v_cvt_f64_f32_e32 v[5:6], v6
	v_cmp_lt_i32_e32 vcc, 5, v11
	v_cmp_eq_u32_e64 s[0:1], 3, v11
	s_or_b64 vcc, s[0:1], vcc
	v_mul_f64 v[5:6], v[5:6], s[2:3]
	v_addc_co_u32_e32 v10, vcc, 0, v10, vcc
	v_cmp_gt_i32_e32 vcc, 31, v8
	v_cndmask_b32_e32 v10, v2, v10, vcc
	v_cmp_ne_u32_e32 vcc, 0, v1
	v_cndmask_b32_e64 v1, 0, 1, vcc
	v_lshl_or_b32 v1, v1, 9, v2
	v_cmp_eq_u32_e32 vcc, s10, v8
	v_and_or_b32 v5, v6, s4, v5
	v_cndmask_b32_e32 v1, v10, v1, vcc
	v_lshrrev_b32_e32 v8, 16, v9
	v_cmp_ne_u32_e32 vcc, 0, v5
	v_and_or_b32 v1, v8, s11, v1
	v_cndmask_b32_e64 v5, 0, 1, vcc
	v_lshrrev_b32_e32 v8, 8, v6
	v_bfe_u32 v9, v6, 20, 11
	v_and_or_b32 v5, v8, s5, v5
	v_sub_u32_e32 v10, 0x3f1, v9
	v_or_b32_e32 v8, 0x1000, v5
	v_med3_i32 v10, v10, 0, 13
	v_lshrrev_b32_e32 v11, v10, v8
	v_lshlrev_b32_e32 v10, v10, v11
	v_cmp_ne_u32_e32 vcc, v10, v8
	v_cndmask_b32_e64 v8, 0, 1, vcc
	v_add_u32_e32 v10, 0xfffffc10, v9
	v_or_b32_e32 v8, v11, v8
	v_lshl_or_b32 v9, v10, 12, v5
	v_cmp_gt_i32_e32 vcc, 1, v10
	v_cndmask_b32_e32 v8, v9, v8, vcc
	v_and_b32_e32 v9, 7, v8
	v_cmp_lt_i32_e32 vcc, 5, v9
	v_cmp_eq_u32_e64 s[0:1], 3, v9
	v_lshrrev_b32_e32 v8, 2, v8
	s_or_b64 vcc, s[0:1], vcc
	v_addc_co_u32_e32 v11, vcc, 0, v8, vcc
	v_add_u32_e32 v8, 0x200, v51
	ds_read2_b32 v[8:9], v8 offset0:106 offset1:223
	v_cmp_gt_i32_e32 vcc, 31, v10
	v_cndmask_b32_e32 v11, v2, v11, vcc
	v_cmp_ne_u32_e32 vcc, 0, v5
	v_cndmask_b32_e64 v5, 0, 1, vcc
	s_waitcnt lgkmcnt(0)
	v_lshrrev_b32_e32 v12, 16, v8
	v_mul_f16_sdwa v13, v55, v12 dst_sel:DWORD dst_unused:UNUSED_PAD src0_sel:WORD_1 src1_sel:DWORD
	v_fma_f16 v13, v55, v8, v13
	v_cvt_f32_f16_e32 v13, v13
	v_lshl_or_b32 v5, v5, 9, v2
	v_cmp_eq_u32_e32 vcc, s10, v10
	v_cndmask_b32_e32 v5, v11, v5, vcc
	v_cvt_f64_f32_e32 v[10:11], v13
	v_lshrrev_b32_e32 v6, 16, v6
	v_and_or_b32 v13, v6, s11, v5
	v_and_b32_e32 v1, 0xffff, v1
	v_mul_f64 v[5:6], v[10:11], s[2:3]
	v_mov_b32_e32 v10, s6
	v_add_co_u32_e32 v3, vcc, s7, v3
	v_lshl_or_b32 v1, v13, 16, v1
	v_addc_co_u32_e32 v4, vcc, v4, v10, vcc
	global_store_dword v[3:4], v1, off
	v_and_or_b32 v1, v6, s4, v5
	v_cmp_ne_u32_e32 vcc, 0, v1
	v_cndmask_b32_e64 v1, 0, 1, vcc
	v_lshrrev_b32_e32 v5, 8, v6
	v_bfe_u32 v10, v6, 20, 11
	v_and_or_b32 v1, v5, s5, v1
	v_sub_u32_e32 v11, 0x3f1, v10
	v_or_b32_e32 v5, 0x1000, v1
	v_med3_i32 v11, v11, 0, 13
	v_lshrrev_b32_e32 v13, v11, v5
	v_lshlrev_b32_e32 v11, v11, v13
	v_cmp_ne_u32_e32 vcc, v11, v5
	v_mul_f16_sdwa v8, v55, v8 dst_sel:DWORD dst_unused:UNUSED_PAD src0_sel:WORD_1 src1_sel:DWORD
	v_cndmask_b32_e64 v5, 0, 1, vcc
	v_fma_f16 v8, v55, v12, -v8
	v_or_b32_e32 v5, v13, v5
	v_add_u32_e32 v13, 0xfffffc10, v10
	v_cvt_f32_f16_e32 v8, v8
	v_lshl_or_b32 v10, v13, 12, v1
	v_cmp_gt_i32_e32 vcc, 1, v13
	v_cndmask_b32_e32 v5, v10, v5, vcc
	v_and_b32_e32 v10, 7, v5
	v_cmp_lt_i32_e32 vcc, 5, v10
	v_cmp_eq_u32_e64 s[0:1], 3, v10
	v_cvt_f64_f32_e32 v[10:11], v8
	v_lshrrev_b32_e32 v5, 2, v5
	s_or_b64 vcc, s[0:1], vcc
	v_addc_co_u32_e32 v5, vcc, 0, v5, vcc
	v_mul_f64 v[10:11], v[10:11], s[2:3]
	v_cmp_gt_i32_e32 vcc, 31, v13
	v_cndmask_b32_e32 v5, v2, v5, vcc
	v_cmp_ne_u32_e32 vcc, 0, v1
	v_cndmask_b32_e64 v1, 0, 1, vcc
	v_lshl_or_b32 v1, v1, 9, v2
	v_cmp_eq_u32_e32 vcc, s10, v13
	v_cndmask_b32_e32 v1, v5, v1, vcc
	v_lshrrev_b32_e32 v5, 16, v6
	v_and_or_b32 v1, v5, s11, v1
	v_and_or_b32 v5, v11, s4, v10
	v_cmp_ne_u32_e32 vcc, 0, v5
	v_cndmask_b32_e64 v5, 0, 1, vcc
	v_lshrrev_b32_e32 v6, 8, v11
	v_bfe_u32 v8, v11, 20, 11
	v_and_or_b32 v5, v6, s5, v5
	v_sub_u32_e32 v10, 0x3f1, v8
	v_or_b32_e32 v6, 0x1000, v5
	v_med3_i32 v10, v10, 0, 13
	v_lshrrev_b32_e32 v12, v10, v6
	v_lshlrev_b32_e32 v10, v10, v12
	v_cmp_ne_u32_e32 vcc, v10, v6
	v_cndmask_b32_e64 v6, 0, 1, vcc
	v_add_u32_e32 v8, 0xfffffc10, v8
	v_or_b32_e32 v6, v12, v6
	v_lshl_or_b32 v10, v8, 12, v5
	v_cmp_gt_i32_e32 vcc, 1, v8
	v_cndmask_b32_e32 v6, v10, v6, vcc
	v_and_b32_e32 v10, 7, v6
	v_cmp_lt_i32_e32 vcc, 5, v10
	v_cmp_eq_u32_e64 s[0:1], 3, v10
	v_lshrrev_b32_e32 v10, 16, v7
	v_lshrrev_b32_e32 v6, 2, v6
	s_or_b64 vcc, s[0:1], vcc
	v_mul_f16_sdwa v12, v54, v10 dst_sel:DWORD dst_unused:UNUSED_PAD src0_sel:WORD_1 src1_sel:DWORD
	v_addc_co_u32_e32 v6, vcc, 0, v6, vcc
	v_fma_f16 v12, v54, v7, v12
	v_cmp_gt_i32_e32 vcc, 31, v8
	v_cvt_f32_f16_e32 v12, v12
	v_cndmask_b32_e32 v6, v2, v6, vcc
	v_cmp_ne_u32_e32 vcc, 0, v5
	v_cndmask_b32_e64 v5, 0, 1, vcc
	v_lshl_or_b32 v5, v5, 9, v2
	v_cmp_eq_u32_e32 vcc, s10, v8
	v_cndmask_b32_e32 v8, v6, v5, vcc
	v_cvt_f64_f32_e32 v[5:6], v12
	v_lshrrev_b32_e32 v11, 16, v11
	v_and_or_b32 v8, v11, s11, v8
	v_and_b32_e32 v1, 0xffff, v1
	v_mul_f64 v[5:6], v[5:6], s[2:3]
	v_lshl_or_b32 v1, v8, 16, v1
	v_mov_b32_e32 v8, s9
	v_add_co_u32_e32 v3, vcc, s8, v3
	v_addc_co_u32_e32 v4, vcc, v4, v8, vcc
	global_store_dword v[3:4], v1, off
	v_and_or_b32 v1, v6, s4, v5
	v_cmp_ne_u32_e32 vcc, 0, v1
	v_cndmask_b32_e64 v1, 0, 1, vcc
	v_lshrrev_b32_e32 v5, 8, v6
	v_bfe_u32 v8, v6, 20, 11
	v_and_or_b32 v1, v5, s5, v1
	v_sub_u32_e32 v11, 0x3f1, v8
	v_or_b32_e32 v5, 0x1000, v1
	v_med3_i32 v11, v11, 0, 13
	v_lshrrev_b32_e32 v12, v11, v5
	v_lshlrev_b32_e32 v11, v11, v12
	v_mul_f16_sdwa v7, v54, v7 dst_sel:DWORD dst_unused:UNUSED_PAD src0_sel:WORD_1 src1_sel:DWORD
	v_cmp_ne_u32_e32 vcc, v11, v5
	v_fma_f16 v7, v54, v10, -v7
	v_cndmask_b32_e64 v5, 0, 1, vcc
	v_add_u32_e32 v11, 0xfffffc10, v8
	v_cvt_f32_f16_e32 v7, v7
	v_or_b32_e32 v5, v12, v5
	v_lshl_or_b32 v8, v11, 12, v1
	v_cmp_gt_i32_e32 vcc, 1, v11
	v_cndmask_b32_e32 v5, v8, v5, vcc
	v_and_b32_e32 v8, 7, v5
	v_cmp_lt_i32_e32 vcc, 5, v8
	v_cmp_eq_u32_e64 s[0:1], 3, v8
	v_cvt_f64_f32_e32 v[7:8], v7
	v_lshrrev_b32_e32 v5, 2, v5
	s_or_b64 vcc, s[0:1], vcc
	v_addc_co_u32_e32 v5, vcc, 0, v5, vcc
	v_mul_f64 v[7:8], v[7:8], s[2:3]
	v_cmp_gt_i32_e32 vcc, 31, v11
	v_cndmask_b32_e32 v5, v2, v5, vcc
	v_cmp_ne_u32_e32 vcc, 0, v1
	v_cndmask_b32_e64 v1, 0, 1, vcc
	v_lshl_or_b32 v1, v1, 9, v2
	v_cmp_eq_u32_e32 vcc, s10, v11
	v_cndmask_b32_e32 v1, v5, v1, vcc
	v_lshrrev_b32_e32 v5, 16, v6
	v_and_or_b32 v1, v5, s11, v1
	v_and_or_b32 v5, v8, s4, v7
	v_cmp_ne_u32_e32 vcc, 0, v5
	v_cndmask_b32_e64 v5, 0, 1, vcc
	v_lshrrev_b32_e32 v6, 8, v8
	v_bfe_u32 v7, v8, 20, 11
	v_and_or_b32 v5, v6, s5, v5
	v_sub_u32_e32 v10, 0x3f1, v7
	v_or_b32_e32 v6, 0x1000, v5
	v_med3_i32 v10, v10, 0, 13
	v_lshrrev_b32_e32 v11, v10, v6
	v_lshlrev_b32_e32 v10, v10, v11
	v_cmp_ne_u32_e32 vcc, v10, v6
	v_cndmask_b32_e64 v6, 0, 1, vcc
	v_add_u32_e32 v7, 0xfffffc10, v7
	v_or_b32_e32 v6, v11, v6
	v_lshl_or_b32 v10, v7, 12, v5
	v_cmp_gt_i32_e32 vcc, 1, v7
	v_cndmask_b32_e32 v6, v10, v6, vcc
	v_and_b32_e32 v10, 7, v6
	v_cmp_lt_i32_e32 vcc, 5, v10
	v_cmp_eq_u32_e64 s[0:1], 3, v10
	v_lshrrev_b32_e32 v10, 16, v9
	v_lshrrev_b32_e32 v6, 2, v6
	s_or_b64 vcc, s[0:1], vcc
	v_mul_f16_sdwa v11, v53, v10 dst_sel:DWORD dst_unused:UNUSED_PAD src0_sel:WORD_1 src1_sel:DWORD
	v_addc_co_u32_e32 v6, vcc, 0, v6, vcc
	v_fma_f16 v11, v53, v9, v11
	v_cmp_gt_i32_e32 vcc, 31, v7
	v_cvt_f32_f16_e32 v11, v11
	v_cndmask_b32_e32 v6, v2, v6, vcc
	v_cmp_ne_u32_e32 vcc, 0, v5
	v_cndmask_b32_e64 v5, 0, 1, vcc
	v_lshl_or_b32 v5, v5, 9, v2
	v_cmp_eq_u32_e32 vcc, s10, v7
	v_cndmask_b32_e32 v7, v6, v5, vcc
	v_cvt_f64_f32_e32 v[5:6], v11
	v_lshrrev_b32_e32 v8, 16, v8
	v_and_or_b32 v7, v8, s11, v7
	v_and_b32_e32 v1, 0xffff, v1
	v_mul_f64 v[5:6], v[5:6], s[2:3]
	v_lshl_or_b32 v1, v7, 16, v1
	v_mov_b32_e32 v7, s6
	v_add_co_u32_e32 v3, vcc, s7, v3
	v_addc_co_u32_e32 v4, vcc, v4, v7, vcc
	global_store_dword v[3:4], v1, off
	v_and_or_b32 v1, v6, s4, v5
	v_cmp_ne_u32_e32 vcc, 0, v1
	v_cndmask_b32_e64 v1, 0, 1, vcc
	v_lshrrev_b32_e32 v5, 8, v6
	v_bfe_u32 v7, v6, 20, 11
	v_and_or_b32 v1, v5, s5, v1
	v_sub_u32_e32 v8, 0x3f1, v7
	v_or_b32_e32 v5, 0x1000, v1
	v_med3_i32 v8, v8, 0, 13
	v_lshrrev_b32_e32 v11, v8, v5
	v_lshlrev_b32_e32 v8, v8, v11
	v_cmp_ne_u32_e32 vcc, v8, v5
	v_mul_f16_sdwa v8, v53, v9 dst_sel:DWORD dst_unused:UNUSED_PAD src0_sel:WORD_1 src1_sel:DWORD
	v_cndmask_b32_e64 v5, 0, 1, vcc
	v_fma_f16 v8, v53, v10, -v8
	v_or_b32_e32 v5, v11, v5
	v_add_u32_e32 v11, 0xfffffc10, v7
	v_cvt_f32_f16_e32 v8, v8
	v_lshl_or_b32 v7, v11, 12, v1
	v_cmp_gt_i32_e32 vcc, 1, v11
	v_cndmask_b32_e32 v5, v7, v5, vcc
	v_and_b32_e32 v7, 7, v5
	v_cmp_lt_i32_e32 vcc, 5, v7
	v_cmp_eq_u32_e64 s[0:1], 3, v7
	v_cvt_f64_f32_e32 v[7:8], v8
	v_lshrrev_b32_e32 v5, 2, v5
	s_or_b64 vcc, s[0:1], vcc
	v_addc_co_u32_e32 v5, vcc, 0, v5, vcc
	v_mul_f64 v[7:8], v[7:8], s[2:3]
	v_cmp_gt_i32_e32 vcc, 31, v11
	v_cndmask_b32_e32 v5, v2, v5, vcc
	v_cmp_ne_u32_e32 vcc, 0, v1
	v_cndmask_b32_e64 v1, 0, 1, vcc
	v_lshl_or_b32 v1, v1, 9, v2
	v_cmp_eq_u32_e32 vcc, s10, v11
	v_cndmask_b32_e32 v1, v5, v1, vcc
	v_lshrrev_b32_e32 v5, 16, v6
	v_and_or_b32 v1, v5, s11, v1
	v_and_or_b32 v5, v8, s4, v7
	v_cmp_ne_u32_e32 vcc, 0, v5
	v_cndmask_b32_e64 v5, 0, 1, vcc
	v_lshrrev_b32_e32 v6, 8, v8
	v_and_or_b32 v7, v6, s5, v5
	v_bfe_u32 v6, v8, 20, 11
	v_sub_u32_e32 v9, 0x3f1, v6
	v_or_b32_e32 v5, 0x1000, v7
	v_med3_i32 v9, v9, 0, 13
	v_lshrrev_b32_e32 v10, v9, v5
	v_lshlrev_b32_e32 v9, v9, v10
	v_cmp_ne_u32_e32 vcc, v9, v5
	v_cndmask_b32_e64 v5, 0, 1, vcc
	v_add_u32_e32 v9, 0xfffffc10, v6
	v_or_b32_e32 v5, v10, v5
	v_lshl_or_b32 v6, v9, 12, v7
	v_cmp_gt_i32_e32 vcc, 1, v9
	v_cndmask_b32_e32 v5, v6, v5, vcc
	v_and_b32_e32 v6, 7, v5
	v_cmp_lt_i32_e32 vcc, 5, v6
	v_cmp_eq_u32_e64 s[0:1], 3, v6
	v_lshrrev_b32_e32 v5, 2, v5
	s_or_b64 vcc, s[0:1], vcc
	v_addc_co_u32_e32 v10, vcc, 0, v5, vcc
	v_add_u32_e32 v5, 0xe00, v51
	ds_read2_b32 v[5:6], v5 offset0:40 offset1:157
	v_cmp_gt_i32_e32 vcc, 31, v9
	v_cndmask_b32_e32 v10, v2, v10, vcc
	v_cmp_ne_u32_e32 vcc, 0, v7
	v_cndmask_b32_e64 v7, 0, 1, vcc
	s_waitcnt lgkmcnt(0)
	v_lshrrev_b32_e32 v11, 16, v5
	v_mul_f16_sdwa v12, v52, v11 dst_sel:DWORD dst_unused:UNUSED_PAD src0_sel:WORD_1 src1_sel:DWORD
	v_fma_f16 v12, v52, v5, v12
	v_cvt_f32_f16_e32 v12, v12
	v_lshl_or_b32 v7, v7, 9, v2
	v_cmp_eq_u32_e32 vcc, s10, v9
	v_cndmask_b32_e32 v7, v10, v7, vcc
	v_cvt_f64_f32_e32 v[9:10], v12
	v_lshrrev_b32_e32 v8, 16, v8
	v_and_or_b32 v12, v8, s11, v7
	v_and_b32_e32 v1, 0xffff, v1
	v_mul_f64 v[7:8], v[9:10], s[2:3]
	v_mov_b32_e32 v9, s9
	v_add_co_u32_e32 v3, vcc, s8, v3
	v_lshl_or_b32 v1, v12, 16, v1
	v_addc_co_u32_e32 v4, vcc, v4, v9, vcc
	global_store_dword v[3:4], v1, off
	v_and_or_b32 v1, v8, s4, v7
	v_cmp_ne_u32_e32 vcc, 0, v1
	v_cndmask_b32_e64 v1, 0, 1, vcc
	v_lshrrev_b32_e32 v7, 8, v8
	v_bfe_u32 v9, v8, 20, 11
	v_and_or_b32 v1, v7, s5, v1
	v_sub_u32_e32 v10, 0x3f1, v9
	v_or_b32_e32 v7, 0x1000, v1
	v_med3_i32 v10, v10, 0, 13
	v_lshrrev_b32_e32 v12, v10, v7
	v_lshlrev_b32_e32 v10, v10, v12
	v_cmp_ne_u32_e32 vcc, v10, v7
	v_mul_f16_sdwa v5, v52, v5 dst_sel:DWORD dst_unused:UNUSED_PAD src0_sel:WORD_1 src1_sel:DWORD
	v_cndmask_b32_e64 v7, 0, 1, vcc
	v_fma_f16 v5, v52, v11, -v5
	v_or_b32_e32 v7, v12, v7
	v_add_u32_e32 v12, 0xfffffc10, v9
	v_cvt_f32_f16_e32 v5, v5
	v_lshl_or_b32 v9, v12, 12, v1
	v_cmp_gt_i32_e32 vcc, 1, v12
	v_cndmask_b32_e32 v7, v9, v7, vcc
	v_and_b32_e32 v9, 7, v7
	v_cmp_lt_i32_e32 vcc, 5, v9
	v_cmp_eq_u32_e64 s[0:1], 3, v9
	v_cvt_f64_f32_e32 v[9:10], v5
	v_lshrrev_b32_e32 v7, 2, v7
	s_or_b64 vcc, s[0:1], vcc
	v_addc_co_u32_e32 v5, vcc, 0, v7, vcc
	v_mul_f64 v[9:10], v[9:10], s[2:3]
	v_cmp_gt_i32_e32 vcc, 31, v12
	v_cndmask_b32_e32 v5, v2, v5, vcc
	v_cmp_ne_u32_e32 vcc, 0, v1
	v_cndmask_b32_e64 v1, 0, 1, vcc
	v_lshl_or_b32 v1, v1, 9, v2
	v_cmp_eq_u32_e32 vcc, s10, v12
	v_cndmask_b32_e32 v1, v5, v1, vcc
	v_lshrrev_b32_e32 v5, 16, v8
	v_and_or_b32 v1, v5, s11, v1
	v_and_or_b32 v5, v10, s4, v9
	v_cmp_ne_u32_e32 vcc, 0, v5
	v_cndmask_b32_e64 v5, 0, 1, vcc
	v_lshrrev_b32_e32 v7, 8, v10
	v_bfe_u32 v8, v10, 20, 11
	v_and_or_b32 v5, v7, s5, v5
	v_sub_u32_e32 v9, 0x3f1, v8
	v_or_b32_e32 v7, 0x1000, v5
	v_med3_i32 v9, v9, 0, 13
	v_lshrrev_b32_e32 v11, v9, v7
	v_lshlrev_b32_e32 v9, v9, v11
	v_cmp_ne_u32_e32 vcc, v9, v7
	v_cndmask_b32_e64 v7, 0, 1, vcc
	v_add_u32_e32 v8, 0xfffffc10, v8
	v_or_b32_e32 v7, v11, v7
	v_lshl_or_b32 v9, v8, 12, v5
	v_cmp_gt_i32_e32 vcc, 1, v8
	v_cndmask_b32_e32 v7, v9, v7, vcc
	v_and_b32_e32 v9, 7, v7
	v_cmp_lt_i32_e32 vcc, 5, v9
	v_cmp_eq_u32_e64 s[0:1], 3, v9
	v_lshrrev_b32_e32 v9, 16, v0
	v_lshrrev_b32_e32 v7, 2, v7
	s_or_b64 vcc, s[0:1], vcc
	v_mul_f16_sdwa v11, v50, v9 dst_sel:DWORD dst_unused:UNUSED_PAD src0_sel:WORD_1 src1_sel:DWORD
	v_addc_co_u32_e32 v7, vcc, 0, v7, vcc
	v_fma_f16 v11, v50, v0, v11
	v_cmp_gt_i32_e32 vcc, 31, v8
	v_cvt_f32_f16_e32 v11, v11
	v_cndmask_b32_e32 v7, v2, v7, vcc
	v_cmp_ne_u32_e32 vcc, 0, v5
	v_cndmask_b32_e64 v5, 0, 1, vcc
	v_lshl_or_b32 v5, v5, 9, v2
	v_cmp_eq_u32_e32 vcc, s10, v8
	v_cndmask_b32_e32 v5, v7, v5, vcc
	v_cvt_f64_f32_e32 v[7:8], v11
	v_lshrrev_b32_e32 v10, 16, v10
	v_and_or_b32 v5, v10, s11, v5
	v_and_b32_e32 v1, 0xffff, v1
	v_mul_f64 v[7:8], v[7:8], s[2:3]
	v_lshl_or_b32 v1, v5, 16, v1
	v_mov_b32_e32 v5, s6
	v_add_co_u32_e32 v3, vcc, s7, v3
	v_addc_co_u32_e32 v4, vcc, v4, v5, vcc
	global_store_dword v[3:4], v1, off
	v_and_or_b32 v1, v8, s4, v7
	v_cmp_ne_u32_e32 vcc, 0, v1
	v_cndmask_b32_e64 v1, 0, 1, vcc
	v_lshrrev_b32_e32 v5, 8, v8
	v_bfe_u32 v7, v8, 20, 11
	v_and_or_b32 v5, v5, s5, v1
	v_sub_u32_e32 v10, 0x3f1, v7
	v_or_b32_e32 v1, 0x1000, v5
	v_med3_i32 v10, v10, 0, 13
	v_lshrrev_b32_e32 v11, v10, v1
	v_mul_f16_sdwa v0, v50, v0 dst_sel:DWORD dst_unused:UNUSED_PAD src0_sel:WORD_1 src1_sel:DWORD
	v_lshlrev_b32_e32 v10, v10, v11
	v_fma_f16 v0, v50, v9, -v0
	v_cmp_ne_u32_e32 vcc, v10, v1
	v_cvt_f32_f16_e32 v0, v0
	v_cndmask_b32_e64 v1, 0, 1, vcc
	v_add_u32_e32 v7, 0xfffffc10, v7
	v_or_b32_e32 v1, v11, v1
	v_lshl_or_b32 v10, v7, 12, v5
	v_cmp_gt_i32_e32 vcc, 1, v7
	v_cndmask_b32_e32 v1, v10, v1, vcc
	v_and_b32_e32 v10, 7, v1
	v_lshrrev_b32_e32 v9, 2, v1
	v_cvt_f64_f32_e32 v[0:1], v0
	v_cmp_lt_i32_e32 vcc, 5, v10
	v_cmp_eq_u32_e64 s[0:1], 3, v10
	s_or_b64 vcc, s[0:1], vcc
	v_mul_f64 v[0:1], v[0:1], s[2:3]
	v_addc_co_u32_e32 v9, vcc, 0, v9, vcc
	v_cmp_gt_i32_e32 vcc, 31, v7
	v_cndmask_b32_e32 v9, v2, v9, vcc
	v_cmp_ne_u32_e32 vcc, 0, v5
	v_cndmask_b32_e64 v5, 0, 1, vcc
	v_lshl_or_b32 v5, v5, 9, v2
	v_cmp_eq_u32_e32 vcc, s10, v7
	v_and_or_b32 v0, v1, s4, v0
	v_cndmask_b32_e32 v5, v9, v5, vcc
	v_lshrrev_b32_e32 v7, 16, v8
	v_cmp_ne_u32_e32 vcc, 0, v0
	v_and_or_b32 v5, v7, s11, v5
	v_cndmask_b32_e64 v0, 0, 1, vcc
	v_lshrrev_b32_e32 v7, 8, v1
	v_bfe_u32 v8, v1, 20, 11
	v_and_or_b32 v0, v7, s5, v0
	v_sub_u32_e32 v9, 0x3f1, v8
	v_or_b32_e32 v7, 0x1000, v0
	v_med3_i32 v9, v9, 0, 13
	v_lshrrev_b32_e32 v10, v9, v7
	v_lshlrev_b32_e32 v9, v9, v10
	v_cmp_ne_u32_e32 vcc, v9, v7
	v_cndmask_b32_e64 v7, 0, 1, vcc
	v_add_u32_e32 v8, 0xfffffc10, v8
	v_or_b32_e32 v7, v10, v7
	v_lshl_or_b32 v9, v8, 12, v0
	v_cmp_gt_i32_e32 vcc, 1, v8
	v_cndmask_b32_e32 v7, v9, v7, vcc
	v_and_b32_e32 v9, 7, v7
	v_cmp_lt_i32_e32 vcc, 5, v9
	v_cmp_eq_u32_e64 s[0:1], 3, v9
	v_lshrrev_b32_e32 v9, 16, v6
	v_lshrrev_b32_e32 v7, 2, v7
	s_or_b64 vcc, s[0:1], vcc
	v_mul_f16_sdwa v10, v49, v9 dst_sel:DWORD dst_unused:UNUSED_PAD src0_sel:WORD_1 src1_sel:DWORD
	v_addc_co_u32_e32 v7, vcc, 0, v7, vcc
	v_fma_f16 v10, v49, v6, v10
	v_cmp_gt_i32_e32 vcc, 31, v8
	v_cvt_f32_f16_e32 v10, v10
	v_cndmask_b32_e32 v7, v2, v7, vcc
	v_cmp_ne_u32_e32 vcc, 0, v0
	v_cndmask_b32_e64 v0, 0, 1, vcc
	v_lshl_or_b32 v0, v0, 9, v2
	v_cmp_eq_u32_e32 vcc, s10, v8
	v_cndmask_b32_e32 v0, v7, v0, vcc
	v_cvt_f64_f32_e32 v[7:8], v10
	v_lshrrev_b32_e32 v1, 16, v1
	v_and_or_b32 v10, v1, s11, v0
	v_add_co_u32_e32 v3, vcc, s8, v3
	v_mul_f64 v[0:1], v[7:8], s[2:3]
	v_mov_b32_e32 v7, s9
	v_and_b32_e32 v5, 0xffff, v5
	v_addc_co_u32_e32 v4, vcc, v4, v7, vcc
	v_lshl_or_b32 v5, v10, 16, v5
	global_store_dword v[3:4], v5, off
	v_mul_f16_sdwa v6, v49, v6 dst_sel:DWORD dst_unused:UNUSED_PAD src0_sel:WORD_1 src1_sel:DWORD
	v_and_or_b32 v0, v1, s4, v0
	v_cmp_ne_u32_e32 vcc, 0, v0
	v_cndmask_b32_e64 v0, 0, 1, vcc
	v_lshrrev_b32_e32 v5, 8, v1
	v_bfe_u32 v7, v1, 20, 11
	v_and_or_b32 v0, v5, s5, v0
	v_sub_u32_e32 v8, 0x3f1, v7
	v_or_b32_e32 v5, 0x1000, v0
	v_med3_i32 v8, v8, 0, 13
	v_lshrrev_b32_e32 v10, v8, v5
	v_lshlrev_b32_e32 v8, v8, v10
	v_cmp_ne_u32_e32 vcc, v8, v5
	v_fma_f16 v6, v49, v9, -v6
	v_cndmask_b32_e64 v5, 0, 1, vcc
	v_add_u32_e32 v7, 0xfffffc10, v7
	v_cvt_f32_f16_e32 v6, v6
	v_or_b32_e32 v5, v10, v5
	v_lshl_or_b32 v8, v7, 12, v0
	v_cmp_gt_i32_e32 vcc, 1, v7
	v_cndmask_b32_e32 v5, v8, v5, vcc
	v_and_b32_e32 v8, 7, v5
	v_cmp_lt_i32_e32 vcc, 5, v8
	v_cmp_eq_u32_e64 s[0:1], 3, v8
	v_lshrrev_b32_e32 v8, 2, v5
	v_cvt_f64_f32_e32 v[5:6], v6
	s_or_b64 vcc, s[0:1], vcc
	v_addc_co_u32_e32 v8, vcc, 0, v8, vcc
	v_mul_f64 v[5:6], v[5:6], s[2:3]
	v_cmp_gt_i32_e32 vcc, 31, v7
	v_cndmask_b32_e32 v8, v2, v8, vcc
	v_cmp_ne_u32_e32 vcc, 0, v0
	v_cndmask_b32_e64 v0, 0, 1, vcc
	v_lshl_or_b32 v0, v0, 9, v2
	v_cmp_eq_u32_e32 vcc, s10, v7
	v_cndmask_b32_e32 v0, v8, v0, vcc
	v_lshrrev_b32_e32 v1, 16, v1
	v_and_or_b32 v0, v1, s11, v0
	v_and_or_b32 v1, v6, s4, v5
	v_cmp_ne_u32_e32 vcc, 0, v1
	v_cndmask_b32_e64 v1, 0, 1, vcc
	v_lshrrev_b32_e32 v5, 8, v6
	v_bfe_u32 v7, v6, 20, 11
	v_and_or_b32 v1, v5, s5, v1
	v_sub_u32_e32 v8, 0x3f1, v7
	v_or_b32_e32 v5, 0x1000, v1
	v_med3_i32 v8, v8, 0, 13
	v_lshrrev_b32_e32 v9, v8, v5
	v_lshlrev_b32_e32 v8, v8, v9
	v_cmp_ne_u32_e32 vcc, v8, v5
	v_cndmask_b32_e64 v5, 0, 1, vcc
	v_add_u32_e32 v7, 0xfffffc10, v7
	v_or_b32_e32 v5, v9, v5
	v_lshl_or_b32 v8, v7, 12, v1
	v_cmp_gt_i32_e32 vcc, 1, v7
	v_cndmask_b32_e32 v5, v8, v5, vcc
	v_and_b32_e32 v8, 7, v5
	v_cmp_lt_i32_e32 vcc, 5, v8
	v_cmp_eq_u32_e64 s[0:1], 3, v8
	v_lshrrev_b32_e32 v5, 2, v5
	s_or_b64 vcc, s[0:1], vcc
	v_addc_co_u32_e32 v5, vcc, 0, v5, vcc
	v_cmp_gt_i32_e32 vcc, 31, v7
	v_cndmask_b32_e32 v5, v2, v5, vcc
	v_cmp_ne_u32_e32 vcc, 0, v1
	v_cndmask_b32_e64 v1, 0, 1, vcc
	v_lshl_or_b32 v1, v1, 9, v2
	v_cmp_eq_u32_e32 vcc, s10, v7
	v_cndmask_b32_e32 v1, v5, v1, vcc
	v_lshrrev_b32_e32 v2, 16, v6
	v_and_or_b32 v1, v2, s11, v1
	v_and_b32_e32 v0, 0xffff, v0
	v_lshl_or_b32 v2, v1, 16, v0
	v_mov_b32_e32 v1, s6
	v_add_co_u32_e32 v0, vcc, s7, v3
	v_addc_co_u32_e32 v1, vcc, v4, v1, vcc
	global_store_dword v[0:1], v2, off
.LBB0_26:
	s_endpgm
	.section	.rodata,"a",@progbits
	.p2align	6, 0x0
	.amdhsa_kernel bluestein_single_fwd_len1170_dim1_half_op_CI_CI
		.amdhsa_group_segment_fixed_size 4680
		.amdhsa_private_segment_fixed_size 0
		.amdhsa_kernarg_size 104
		.amdhsa_user_sgpr_count 6
		.amdhsa_user_sgpr_private_segment_buffer 1
		.amdhsa_user_sgpr_dispatch_ptr 0
		.amdhsa_user_sgpr_queue_ptr 0
		.amdhsa_user_sgpr_kernarg_segment_ptr 1
		.amdhsa_user_sgpr_dispatch_id 0
		.amdhsa_user_sgpr_flat_scratch_init 0
		.amdhsa_user_sgpr_private_segment_size 0
		.amdhsa_uses_dynamic_stack 0
		.amdhsa_system_sgpr_private_segment_wavefront_offset 0
		.amdhsa_system_sgpr_workgroup_id_x 1
		.amdhsa_system_sgpr_workgroup_id_y 0
		.amdhsa_system_sgpr_workgroup_id_z 0
		.amdhsa_system_sgpr_workgroup_info 0
		.amdhsa_system_vgpr_workitem_id 0
		.amdhsa_next_free_vgpr 206
		.amdhsa_next_free_sgpr 32
		.amdhsa_reserve_vcc 1
		.amdhsa_reserve_flat_scratch 0
		.amdhsa_float_round_mode_32 0
		.amdhsa_float_round_mode_16_64 0
		.amdhsa_float_denorm_mode_32 3
		.amdhsa_float_denorm_mode_16_64 3
		.amdhsa_dx10_clamp 1
		.amdhsa_ieee_mode 1
		.amdhsa_fp16_overflow 0
		.amdhsa_exception_fp_ieee_invalid_op 0
		.amdhsa_exception_fp_denorm_src 0
		.amdhsa_exception_fp_ieee_div_zero 0
		.amdhsa_exception_fp_ieee_overflow 0
		.amdhsa_exception_fp_ieee_underflow 0
		.amdhsa_exception_fp_ieee_inexact 0
		.amdhsa_exception_int_div_zero 0
	.end_amdhsa_kernel
	.text
.Lfunc_end0:
	.size	bluestein_single_fwd_len1170_dim1_half_op_CI_CI, .Lfunc_end0-bluestein_single_fwd_len1170_dim1_half_op_CI_CI
                                        ; -- End function
	.section	.AMDGPU.csdata,"",@progbits
; Kernel info:
; codeLenInByte = 21320
; NumSgprs: 36
; NumVgprs: 206
; ScratchSize: 0
; MemoryBound: 0
; FloatMode: 240
; IeeeMode: 1
; LDSByteSize: 4680 bytes/workgroup (compile time only)
; SGPRBlocks: 4
; VGPRBlocks: 51
; NumSGPRsForWavesPerEU: 36
; NumVGPRsForWavesPerEU: 206
; Occupancy: 1
; WaveLimiterHint : 1
; COMPUTE_PGM_RSRC2:SCRATCH_EN: 0
; COMPUTE_PGM_RSRC2:USER_SGPR: 6
; COMPUTE_PGM_RSRC2:TRAP_HANDLER: 0
; COMPUTE_PGM_RSRC2:TGID_X_EN: 1
; COMPUTE_PGM_RSRC2:TGID_Y_EN: 0
; COMPUTE_PGM_RSRC2:TGID_Z_EN: 0
; COMPUTE_PGM_RSRC2:TIDIG_COMP_CNT: 0
	.type	__hip_cuid_8bb4a246f67dd0d2,@object ; @__hip_cuid_8bb4a246f67dd0d2
	.section	.bss,"aw",@nobits
	.globl	__hip_cuid_8bb4a246f67dd0d2
__hip_cuid_8bb4a246f67dd0d2:
	.byte	0                               ; 0x0
	.size	__hip_cuid_8bb4a246f67dd0d2, 1

	.ident	"AMD clang version 19.0.0git (https://github.com/RadeonOpenCompute/llvm-project roc-6.4.0 25133 c7fe45cf4b819c5991fe208aaa96edf142730f1d)"
	.section	".note.GNU-stack","",@progbits
	.addrsig
	.addrsig_sym __hip_cuid_8bb4a246f67dd0d2
	.amdgpu_metadata
---
amdhsa.kernels:
  - .args:
      - .actual_access:  read_only
        .address_space:  global
        .offset:         0
        .size:           8
        .value_kind:     global_buffer
      - .actual_access:  read_only
        .address_space:  global
        .offset:         8
        .size:           8
        .value_kind:     global_buffer
      - .actual_access:  read_only
        .address_space:  global
        .offset:         16
        .size:           8
        .value_kind:     global_buffer
      - .actual_access:  read_only
        .address_space:  global
        .offset:         24
        .size:           8
        .value_kind:     global_buffer
      - .actual_access:  read_only
        .address_space:  global
        .offset:         32
        .size:           8
        .value_kind:     global_buffer
      - .offset:         40
        .size:           8
        .value_kind:     by_value
      - .address_space:  global
        .offset:         48
        .size:           8
        .value_kind:     global_buffer
      - .address_space:  global
        .offset:         56
        .size:           8
        .value_kind:     global_buffer
      - .address_space:  global
        .offset:         64
        .size:           8
        .value_kind:     global_buffer
      - .address_space:  global
        .offset:         72
        .size:           8
        .value_kind:     global_buffer
      - .offset:         80
        .size:           4
        .value_kind:     by_value
      - .address_space:  global
        .offset:         88
        .size:           8
        .value_kind:     global_buffer
      - .address_space:  global
        .offset:         96
        .size:           8
        .value_kind:     global_buffer
    .group_segment_fixed_size: 4680
    .kernarg_segment_align: 8
    .kernarg_segment_size: 104
    .language:       OpenCL C
    .language_version:
      - 2
      - 0
    .max_flat_workgroup_size: 117
    .name:           bluestein_single_fwd_len1170_dim1_half_op_CI_CI
    .private_segment_fixed_size: 0
    .sgpr_count:     36
    .sgpr_spill_count: 0
    .symbol:         bluestein_single_fwd_len1170_dim1_half_op_CI_CI.kd
    .uniform_work_group_size: 1
    .uses_dynamic_stack: false
    .vgpr_count:     206
    .vgpr_spill_count: 0
    .wavefront_size: 64
amdhsa.target:   amdgcn-amd-amdhsa--gfx906
amdhsa.version:
  - 1
  - 2
...

	.end_amdgpu_metadata
